;; amdgpu-corpus repo=ROCm/rocFFT kind=compiled arch=gfx950 opt=O3
	.text
	.amdgcn_target "amdgcn-amd-amdhsa--gfx950"
	.amdhsa_code_object_version 6
	.protected	bluestein_single_fwd_len768_dim1_sp_op_CI_CI ; -- Begin function bluestein_single_fwd_len768_dim1_sp_op_CI_CI
	.globl	bluestein_single_fwd_len768_dim1_sp_op_CI_CI
	.p2align	8
	.type	bluestein_single_fwd_len768_dim1_sp_op_CI_CI,@function
bluestein_single_fwd_len768_dim1_sp_op_CI_CI: ; @bluestein_single_fwd_len768_dim1_sp_op_CI_CI
; %bb.0:
	s_load_dwordx4 s[12:15], s[0:1], 0x28
	v_mul_u32_u24_e32 v1, 0x556, v0
	v_add_u32_sdwa v74, s2, v1 dst_sel:DWORD dst_unused:UNUSED_PAD src0_sel:DWORD src1_sel:WORD_1
	v_mov_b32_e32 v75, 0
	s_waitcnt lgkmcnt(0)
	v_cmp_gt_u64_e32 vcc, s[12:13], v[74:75]
	s_and_saveexec_b64 s[2:3], vcc
	s_cbranch_execz .LBB0_10
; %bb.1:
	s_load_dwordx4 s[4:7], s[0:1], 0x18
	s_load_dwordx4 s[8:11], s[0:1], 0x0
	v_mov_b32_e32 v2, s14
	v_mov_b32_e32 v3, s15
	;; [unrolled: 1-line block ×3, first 2 shown]
	s_waitcnt lgkmcnt(0)
	s_load_dwordx4 s[12:15], s[4:5], 0x0
	v_mul_lo_u16_sdwa v1, v1, v4 dst_sel:DWORD dst_unused:UNUSED_PAD src0_sel:WORD_1 src1_sel:DWORD
	v_sub_u16_e32 v80, v0, v1
	v_mov_b32_e32 v34, 0x180
	v_or_b32_e32 v81, 0xc0, v80
	s_waitcnt lgkmcnt(0)
	v_mad_u64_u32 v[0:1], s[2:3], s14, v74, 0
	v_mov_b32_e32 v4, v1
	v_mad_u64_u32 v[4:5], s[2:3], s15, v74, v[4:5]
	v_mov_b32_e32 v1, v4
	v_mad_u64_u32 v[4:5], s[2:3], s12, v80, 0
	v_mov_b32_e32 v6, v5
	v_mad_u64_u32 v[6:7], s[2:3], s13, v80, v[6:7]
	v_mov_b32_e32 v5, v6
	v_lshl_add_u64 v[6:7], v[0:1], 3, v[2:3]
	v_lshl_add_u64 v[4:5], v[4:5], 3, v[6:7]
	v_mad_u64_u32 v[8:9], s[2:3], s12, v34, v[4:5]
	s_mul_i32 s2, s13, 0x180
	s_nop 0
	v_add_u32_e32 v9, s2, v9
	v_mov_b32_e32 v67, v75
	v_or_b32_e32 v75, 0x180, v80
	v_mad_u64_u32 v[12:13], s[4:5], s12, v81, 0
	v_mad_u64_u32 v[10:11], s[4:5], s12, v34, v[8:9]
	;; [unrolled: 1-line block ×3, first 2 shown]
	v_mov_b32_e32 v16, v13
	v_add_u32_e32 v11, s2, v11
	v_mov_b32_e32 v18, v15
	v_mad_u64_u32 v[16:17], s[4:5], s13, v81, v[16:17]
	global_load_dwordx2 v[2:3], v[8:9], off
	global_load_dwordx2 v[0:1], v[10:11], off
	v_mad_u64_u32 v[8:9], s[4:5], s12, v34, v[10:11]
	v_mad_u64_u32 v[18:19], s[4:5], s13, v75, v[18:19]
	v_mov_b32_e32 v13, v16
	v_lshlrev_b32_e32 v66, 3, v80
	v_add_u32_e32 v9, s2, v9
	v_mov_b32_e32 v35, 0x300
	v_mov_b32_e32 v15, v18
	v_lshl_add_u64 v[12:13], v[12:13], 3, v[6:7]
	global_load_dwordx2 v[102:103], v66, s[8:9]
	global_load_dwordx2 v[98:99], v66, s[8:9] offset:384
	global_load_dwordx2 v[90:91], v66, s[8:9] offset:768
	;; [unrolled: 1-line block ×7, first 2 shown]
	s_mul_i32 s3, s13, 0x300
	global_load_dwordx2 v[4:5], v[4:5], off
	v_lshl_add_u64 v[14:15], v[14:15], 3, v[6:7]
	global_load_dwordx2 v[16:17], v[12:13], off
	global_load_dwordx2 v[18:19], v[14:15], off
	;; [unrolled: 1-line block ×3, first 2 shown]
	v_mad_u64_u32 v[8:9], s[4:5], s12, v35, v[8:9]
	v_add_u32_e32 v9, s3, v9
	global_load_dwordx2 v[12:13], v[8:9], off
	v_mad_u64_u32 v[8:9], s[4:5], s12, v34, v[8:9]
	v_add_u32_e32 v9, s2, v9
	global_load_dwordx2 v[14:15], v[8:9], off
	;; [unrolled: 3-line block ×5, first 2 shown]
	global_load_dwordx2 v[96:97], v66, s[8:9] offset:3072
	global_load_dwordx2 v[92:93], v66, s[8:9] offset:3456
	;; [unrolled: 1-line block ×3, first 2 shown]
	v_mad_u64_u32 v[8:9], s[4:5], s12, v34, v[8:9]
	v_lshl_add_u64 v[10:11], s[8:9], 0, v[66:67]
	s_movk_i32 s4, 0x1000
	v_or_b32_e32 v67, 0x240, v80
	v_add_co_u32_e32 v10, vcc, s4, v10
	v_mad_u64_u32 v[30:31], s[4:5], s12, v67, 0
	v_mov_b32_e32 v32, v31
	v_add_u32_e32 v9, s2, v9
	v_mad_u64_u32 v[32:33], s[4:5], s13, v67, v[32:33]
	global_load_dwordx2 v[28:29], v[8:9], off
	v_mov_b32_e32 v31, v32
	v_mad_u64_u32 v[8:9], s[4:5], s12, v35, v[8:9]
	v_addc_co_u32_e32 v11, vcc, 0, v11, vcc
	v_lshl_add_u64 v[6:7], v[30:31], 3, v[6:7]
	v_lshlrev_b32_e32 v47, 3, v67
	v_add_u32_e32 v9, s3, v9
	global_load_dwordx2 v[88:89], v[10:11], off offset:128
	global_load_dwordx2 v[78:79], v47, s[8:9]
	v_add_u32_e32 v44, 0x800, v66
	global_load_dwordx2 v[6:7], v[6:7], off
	s_nop 0
	global_load_dwordx2 v[30:31], v[8:9], off
	global_load_dwordx2 v[72:73], v[10:11], off offset:896
	v_mad_u64_u32 v[8:9], s[4:5], s12, v34, v[8:9]
	v_add_u32_e32 v9, s2, v9
	global_load_dwordx2 v[32:33], v[8:9], off
	global_load_dwordx2 v[70:71], v[10:11], off offset:1280
	v_mad_u64_u32 v[8:9], s[4:5], s12, v34, v[8:9]
	v_add_u32_e32 v9, s2, v9
	global_load_dwordx2 v[34:35], v[8:9], off
	global_load_dwordx2 v[68:69], v[10:11], off offset:1664
	v_add_u32_e32 v46, 0x1000, v66
	s_load_dwordx4 s[4:7], s[6:7], 0x0
	s_mov_b32 s2, 0x3f3504f3
	s_mov_b32 s14, 0x3f6c835e
	;; [unrolled: 1-line block ×3, first 2 shown]
	v_cmp_gt_u16_e32 vcc, 16, v80
	s_waitcnt vmcnt(21)
	v_mul_f32_e32 v8, v5, v103
	v_mul_f32_e32 v9, v4, v103
	v_fmac_f32_e32 v8, v4, v102
	v_fma_f32 v9, v5, v102, -v9
	v_mul_f32_e32 v4, v3, v99
	v_mul_f32_e32 v5, v2, v99
	v_fmac_f32_e32 v4, v2, v98
	v_fma_f32 v5, v3, v98, -v5
	;; [unrolled: 4-line block ×3, first 2 shown]
	s_waitcnt vmcnt(18)
	v_mul_f32_e32 v0, v21, v85
	v_mul_f32_e32 v1, v20, v85
	v_fmac_f32_e32 v0, v20, v84
	v_fma_f32 v1, v21, v84, -v1
	ds_write2_b64 v66, v[8:9], v[4:5] offset1:48
	ds_write2_b64 v66, v[2:3], v[0:1] offset0:96 offset1:144
	v_mul_f32_e32 v0, v16, v101
	s_waitcnt vmcnt(17)
	v_mul_f32_e32 v2, v12, v95
	v_fma_f32 v1, v17, v100, -v0
	v_mul_f32_e32 v0, v17, v101
	v_fma_f32 v3, v13, v94, -v2
	v_mul_f32_e32 v2, v13, v95
	v_fmac_f32_e32 v0, v16, v100
	v_fmac_f32_e32 v2, v12, v94
	ds_write2_b64 v66, v[0:1], v[2:3] offset0:192 offset1:240
	s_waitcnt vmcnt(16)
	v_mul_f32_e32 v0, v15, v87
	v_mul_f32_e32 v1, v14, v87
	s_waitcnt vmcnt(15)
	v_mul_f32_e32 v2, v23, v77
	v_mul_f32_e32 v3, v22, v77
	v_fmac_f32_e32 v0, v14, v86
	v_fma_f32 v1, v15, v86, -v1
	v_fmac_f32_e32 v2, v22, v76
	v_fma_f32 v3, v23, v76, -v3
	ds_write2_b64 v44, v[0:1], v[2:3] offset0:32 offset1:80
	s_waitcnt vmcnt(12)
	v_mul_f32_e32 v0, v19, v97
	v_mul_f32_e32 v1, v18, v97
	s_waitcnt vmcnt(11)
	v_mul_f32_e32 v2, v25, v93
	v_mul_f32_e32 v3, v24, v93
	v_fmac_f32_e32 v0, v18, v96
	v_fma_f32 v1, v19, v96, -v1
	v_fmac_f32_e32 v2, v24, v92
	v_fma_f32 v3, v25, v92, -v3
	;; [unrolled: 11-line block ×3, first 2 shown]
	v_add_u32_e32 v16, 0xc00, v66
	ds_write2_b64 v16, v[0:1], v[2:3] offset0:96 offset1:144
	s_waitcnt vmcnt(6)
	v_mul_f32_e32 v0, v7, v79
	v_mul_f32_e32 v1, v6, v79
	s_waitcnt vmcnt(4)
	v_mul_f32_e32 v2, v31, v73
	v_mul_f32_e32 v3, v30, v73
	v_fmac_f32_e32 v0, v6, v78
	v_fma_f32 v1, v7, v78, -v1
	v_fmac_f32_e32 v2, v30, v72
	v_fma_f32 v3, v31, v72, -v3
	ds_write2_b64 v46, v[0:1], v[2:3] offset0:64 offset1:112
	s_waitcnt vmcnt(2)
	v_mul_f32_e32 v0, v33, v71
	v_mul_f32_e32 v1, v32, v71
	s_waitcnt vmcnt(0)
	v_mul_f32_e32 v2, v35, v69
	v_mul_f32_e32 v3, v34, v69
	v_fmac_f32_e32 v0, v32, v70
	v_fma_f32 v1, v33, v70, -v1
	v_fmac_f32_e32 v2, v34, v68
	v_fma_f32 v3, v35, v68, -v3
	ds_write2_b64 v46, v[0:1], v[2:3] offset0:160 offset1:208
	s_waitcnt lgkmcnt(0)
	; wave barrier
	s_waitcnt lgkmcnt(0)
	ds_read2_b64 v[0:3], v66 offset1:48
	ds_read2_b64 v[4:7], v44 offset0:128 offset1:176
	ds_read2_b64 v[8:11], v66 offset0:192 offset1:240
	;; [unrolled: 1-line block ×7, first 2 shown]
	s_waitcnt lgkmcnt(6)
	v_pk_add_f32 v[4:5], v[0:1], v[4:5] neg_lo:[0,1] neg_hi:[0,1]
	v_pk_add_f32 v[6:7], v[2:3], v[6:7] neg_lo:[0,1] neg_hi:[0,1]
	s_waitcnt lgkmcnt(4)
	v_pk_add_f32 v[12:13], v[8:9], v[12:13] neg_lo:[0,1] neg_hi:[0,1]
	s_waitcnt lgkmcnt(2)
	v_pk_add_f32 v[16:17], v[20:21], v[16:17] neg_lo:[0,1] neg_hi:[0,1]
	s_waitcnt lgkmcnt(0)
	v_pk_add_f32 v[24:25], v[28:29], v[24:25] neg_lo:[0,1] neg_hi:[0,1]
	v_pk_add_f32 v[18:19], v[22:23], v[18:19] neg_lo:[0,1] neg_hi:[0,1]
	;; [unrolled: 1-line block ×3, first 2 shown]
	v_pk_add_f32 v[32:33], v[16:17], v[24:25] op_sel:[0,1] op_sel_hi:[1,0] neg_lo:[0,1] neg_hi:[0,1]
	v_pk_add_f32 v[34:35], v[16:17], v[24:25] op_sel:[0,1] op_sel_hi:[1,0]
	v_pk_fma_f32 v[24:25], v[28:29], 2.0, v[24:25] op_sel_hi:[1,0,1] neg_lo:[0,0,1] neg_hi:[0,0,1]
	v_pk_fma_f32 v[28:29], v[30:31], 2.0, v[26:27] op_sel_hi:[1,0,1] neg_lo:[0,0,1] neg_hi:[0,0,1]
	v_pk_add_f32 v[30:31], v[18:19], v[26:27] op_sel:[0,1] op_sel_hi:[1,0] neg_lo:[0,1] neg_hi:[0,1]
	v_pk_add_f32 v[26:27], v[18:19], v[26:27] op_sel:[0,1] op_sel_hi:[1,0]
	v_pk_fma_f32 v[8:9], v[8:9], 2.0, v[12:13] op_sel_hi:[1,0,1] neg_lo:[0,0,1] neg_hi:[0,0,1]
	v_mov_b32_e32 v31, v27
	v_pk_add_f32 v[26:27], v[4:5], v[12:13] op_sel:[0,1] op_sel_hi:[1,0] neg_lo:[0,1] neg_hi:[0,1]
	v_pk_add_f32 v[12:13], v[4:5], v[12:13] op_sel:[0,1] op_sel_hi:[1,0]
	v_mov_b32_e32 v33, v35
	v_mov_b32_e32 v27, v13
	v_pk_fma_f32 v[0:1], v[0:1], 2.0, v[4:5] op_sel_hi:[1,0,1] neg_lo:[0,0,1] neg_hi:[0,0,1]
	v_pk_fma_f32 v[20:21], v[20:21], 2.0, v[16:17] op_sel_hi:[1,0,1] neg_lo:[0,0,1] neg_hi:[0,0,1]
	;; [unrolled: 1-line block ×4, first 2 shown]
	v_pk_add_f32 v[14:15], v[10:11], v[14:15] neg_lo:[0,1] neg_hi:[0,1]
	v_pk_mul_f32 v[34:35], v[16:17], s[2:3] op_sel_hi:[1,0]
	v_pk_fma_f32 v[16:17], v[16:17], s[2:3], v[4:5] op_sel_hi:[1,0,1] neg_lo:[1,0,0] neg_hi:[1,0,0]
	v_pk_fma_f32 v[10:11], v[10:11], 2.0, v[14:15] op_sel_hi:[1,0,1] neg_lo:[0,0,1] neg_hi:[0,0,1]
	v_pk_add_f32 v[36:37], v[16:17], v[34:35] op_sel:[0,1] op_sel_hi:[1,0] neg_lo:[0,1] neg_hi:[0,1]
	v_pk_add_f32 v[16:17], v[16:17], v[34:35] op_sel:[0,1] op_sel_hi:[1,0]
	v_pk_add_f32 v[34:35], v[6:7], v[14:15] op_sel:[0,1] op_sel_hi:[1,0] neg_lo:[0,1] neg_hi:[0,1]
	v_pk_add_f32 v[14:15], v[6:7], v[14:15] op_sel:[0,1] op_sel_hi:[1,0]
	v_pk_fma_f32 v[2:3], v[2:3], 2.0, v[6:7] op_sel_hi:[1,0,1] neg_lo:[0,0,1] neg_hi:[0,0,1]
	v_mov_b32_e32 v35, v15
	v_pk_fma_f32 v[22:23], v[22:23], 2.0, v[18:19] op_sel_hi:[1,0,1] neg_lo:[0,0,1] neg_hi:[0,0,1]
	v_pk_fma_f32 v[6:7], v[6:7], 2.0, v[34:35] op_sel_hi:[1,0,1] neg_lo:[0,0,1] neg_hi:[0,0,1]
	;; [unrolled: 1-line block ×3, first 2 shown]
	v_pk_add_f32 v[8:9], v[0:1], v[8:9] neg_lo:[0,1] neg_hi:[0,1]
	v_pk_mul_f32 v[38:39], v[18:19], s[2:3] op_sel_hi:[1,0]
	v_pk_fma_f32 v[18:19], v[18:19], s[2:3], v[6:7] op_sel_hi:[1,0,1] neg_lo:[1,0,0] neg_hi:[1,0,0]
	v_pk_add_f32 v[24:25], v[20:21], v[24:25] neg_lo:[0,1] neg_hi:[0,1]
	v_pk_add_f32 v[10:11], v[2:3], v[10:11] neg_lo:[0,1] neg_hi:[0,1]
	;; [unrolled: 1-line block ×3, first 2 shown]
	v_pk_add_f32 v[40:41], v[18:19], v[38:39] op_sel:[0,1] op_sel_hi:[1,0] neg_lo:[0,1] neg_hi:[0,1]
	v_pk_add_f32 v[18:19], v[18:19], v[38:39] op_sel:[0,1] op_sel_hi:[1,0]
	v_pk_fma_f32 v[0:1], v[0:1], 2.0, v[8:9] op_sel_hi:[1,0,1] neg_lo:[0,0,1] neg_hi:[0,0,1]
	v_pk_fma_f32 v[20:21], v[20:21], 2.0, v[24:25] op_sel_hi:[1,0,1] neg_lo:[0,0,1] neg_hi:[0,0,1]
	;; [unrolled: 1-line block ×4, first 2 shown]
	v_pk_add_f32 v[20:21], v[0:1], v[20:21] neg_lo:[0,1] neg_hi:[0,1]
	v_pk_add_f32 v[22:23], v[2:3], v[22:23] neg_lo:[0,1] neg_hi:[0,1]
	v_mov_b32_e32 v37, v17
	v_mov_b32_e32 v41, v19
	v_pk_fma_f32 v[38:39], v[0:1], 2.0, v[20:21] op_sel_hi:[1,0,1] neg_lo:[0,0,1] neg_hi:[0,0,1]
	v_pk_fma_f32 v[0:1], v[2:3], 2.0, v[22:23] op_sel_hi:[1,0,1] neg_lo:[0,0,1] neg_hi:[0,0,1]
	;; [unrolled: 1-line block ×4, first 2 shown]
	v_pk_add_f32 v[0:1], v[38:39], v[0:1] neg_lo:[0,1] neg_hi:[0,1]
	v_pk_fma_f32 v[4:5], v[2:3], s[14:15], v[42:43] op_sel_hi:[1,0,1] neg_lo:[1,0,0] neg_hi:[1,0,0]
	v_pk_mul_f32 v[6:7], v[2:3], s[12:13] op_sel_hi:[1,0]
	s_nop 0
	v_pk_add_f32 v[2:3], v[4:5], v[6:7] op_sel:[0,1] op_sel_hi:[1,0] neg_lo:[0,1] neg_hi:[0,1]
	v_pk_add_f32 v[48:49], v[4:5], v[6:7] op_sel:[0,1] op_sel_hi:[1,0]
	v_pk_fma_f32 v[4:5], v[38:39], 2.0, v[0:1] op_sel_hi:[1,0,1] neg_lo:[0,0,1] neg_hi:[0,0,1]
	v_mov_b32_e32 v3, v49
	v_pk_fma_f32 v[6:7], v[42:43], 2.0, v[2:3] op_sel_hi:[1,0,1] neg_lo:[0,0,1] neg_hi:[0,0,1]
	v_lshlrev_b16_e32 v3, 4, v80
	v_lshlrev_b32_e32 v45, 3, v3
	v_mov_b32_e32 v3, v49
	; wave barrier
	ds_write_b128 v45, v[0:3] offset:64
	v_pk_mul_f32 v[0:1], v[30:31], s[2:3] op_sel_hi:[1,0]
	v_pk_fma_f32 v[2:3], v[30:31], s[2:3], v[34:35] op_sel_hi:[1,0,1]
	ds_write_b128 v45, v[4:7]
	v_pk_add_f32 v[30:31], v[2:3], v[0:1] op_sel:[0,1] op_sel_hi:[1,0] neg_lo:[0,1] neg_hi:[0,1]
	v_pk_add_f32 v[2:3], v[2:3], v[0:1] op_sel:[0,1] op_sel_hi:[1,0]
	v_pk_add_f32 v[6:7], v[8:9], v[24:25] op_sel:[0,1] op_sel_hi:[1,0]
	v_fma_f32 v18, v15, 2.0, -v3
	v_pk_add_f32 v[14:15], v[8:9], v[24:25] op_sel:[0,1] op_sel_hi:[1,0] neg_lo:[0,1] neg_hi:[0,1]
	v_pk_add_f32 v[24:25], v[10:11], v[28:29] op_sel:[0,1] op_sel_hi:[1,0]
	v_mov_b32_e32 v15, v7
	v_pk_fma_f32 v[4:5], v[8:9], 2.0, v[14:15] op_sel_hi:[1,0,1] neg_lo:[0,0,1] neg_hi:[0,0,1]
	v_pk_add_f32 v[8:9], v[10:11], v[28:29] op_sel:[0,1] op_sel_hi:[1,0] neg_lo:[0,1] neg_hi:[0,1]
	v_pk_mul_f32 v[38:39], v[32:33], s[2:3] op_sel_hi:[1,0]
	v_pk_fma_f32 v[32:33], v[32:33], s[2:3], v[26:27] op_sel_hi:[1,0,1]
	v_mov_b32_e32 v9, v25
	v_pk_add_f32 v[42:43], v[32:33], v[38:39] op_sel:[0,1] op_sel_hi:[1,0] neg_lo:[0,1] neg_hi:[0,1]
	v_pk_fma_f32 v[0:1], v[10:11], 2.0, v[8:9] op_sel_hi:[1,0,1] neg_lo:[0,0,1] neg_hi:[0,0,1]
	v_fma_f32 v12, v26, 2.0, -v42
	v_fma_f32 v16, v34, 2.0, -v30
	v_pk_mul_f32 v[10:11], v[0:1], s[2:3] op_sel_hi:[1,0]
	v_pk_fma_f32 v[0:1], v[0:1], s[2:3], v[4:5] op_sel_hi:[1,0,1] neg_lo:[1,0,0] neg_hi:[1,0,0]
	v_fmamk_f32 v2, v16, 0xbec3ef15, v12
	v_pk_add_f32 v[26:27], v[0:1], v[10:11] op_sel:[0,1] op_sel_hi:[1,0]
	v_pk_add_f32 v[0:1], v[0:1], v[10:11] op_sel:[0,1] op_sel_hi:[1,0] neg_lo:[0,1] neg_hi:[0,1]
	v_fmac_f32_e32 v2, 0xbf6c835e, v18
	v_mov_b32_e32 v1, v27
	v_pk_fma_f32 v[4:5], v[4:5], 2.0, v[0:1] op_sel_hi:[1,0,1] neg_lo:[0,0,1] neg_hi:[0,0,1]
	v_fma_f32 v6, v12, 2.0, -v2
	ds_write_b96 v45, v[4:6] offset:16
	v_pk_add_f32 v[4:5], v[32:33], v[38:39] op_sel:[0,1] op_sel_hi:[1,0]
	v_mov_b32_e32 v11, v20
	v_fma_f32 v10, v13, 2.0, -v5
	v_mov_b32_e32 v4, v21
	v_pk_add_f32 v[12:13], v[4:5], v[22:23]
	v_pk_add_f32 v[22:23], v[10:11], v[22:23] neg_lo:[0,1] neg_hi:[0,1]
	v_fmamk_f32 v13, v40, 0x3ec3ef15, v36
	v_fmamk_f32 v22, v18, 0xbec3ef15, v10
	v_fmac_f32_e32 v22, 0x3f6c835e, v16
	v_pk_fma_f32 v[10:11], v[10:11], 2.0, v[22:23] op_sel_hi:[1,0,1] neg_lo:[0,0,1] neg_hi:[0,0,1]
	ds_write2_b32 v45, v10, v11 offset0:7 offset1:8
	v_mov_b32_e32 v10, v21
	v_mov_b32_e32 v11, v36
	v_fmac_f32_e32 v13, 0xbf6c835e, v19
	v_mov_b32_e32 v31, v3
	v_pk_fma_f32 v[10:11], v[10:11], 2.0, v[12:13] op_sel_hi:[1,0,1] neg_lo:[0,0,1] neg_hi:[0,0,1]
	ds_write2_b32 v45, v10, v11 offset0:9 offset1:10
	v_mov_b32_e32 v10, v19
	v_mov_b32_e32 v11, v8
	;; [unrolled: 1-line block ×3, first 2 shown]
	v_pk_mul_f32 v[18:19], v[30:31], s[12:13] op_sel_hi:[1,0]
	s_mov_b32 s13, s2
	v_mov_b32_e32 v16, v17
	v_mov_b32_e32 v17, v14
	;; [unrolled: 1-line block ×3, first 2 shown]
	v_pk_fma_f32 v[8:9], v[30:31], s[14:15], v[42:43] op_sel_hi:[1,0,1]
	s_mov_b32 s15, s2
	v_pk_fma_f32 v[20:21], v[10:11], s[12:13], v[16:17]
	v_pk_fma_f32 v[14:15], v[40:41], s[14:15], v[14:15]
	;; [unrolled: 1-line block ×3, first 2 shown]
	v_pk_fma_f32 v[20:21], v[40:41], s[14:15], v[20:21] neg_lo:[1,0,0] neg_hi:[1,0,0]
	v_pk_fma_f32 v[10:11], v[10:11], s[12:13], v[14:15]
	v_mov_b32_e32 v25, v21
	v_pk_fma_f32 v[14:15], v[16:17], 2.0, v[24:25] op_sel_hi:[1,0,1] neg_lo:[0,0,1] neg_hi:[0,0,1]
	v_mov_b32_e32 v6, v7
	v_mov_b32_e32 v7, v42
	v_pk_add_f32 v[42:43], v[8:9], v[18:19] op_sel:[0,1] op_sel_hi:[1,0]
	v_pk_add_f32 v[8:9], v[8:9], v[18:19] op_sel:[0,1] op_sel_hi:[1,0] neg_lo:[0,1] neg_hi:[0,1]
	ds_write2_b32 v45, v14, v15 offset0:11 offset1:12
	v_mov_b32_e32 v14, v11
	v_mov_b32_e32 v15, v8
	v_pk_fma_f32 v[6:7], v[6:7], 2.0, v[14:15] op_sel_hi:[1,0,1] neg_lo:[0,0,1] neg_hi:[0,0,1]
	v_mov_b32_e32 v9, v43
	v_fma_f32 v3, v5, 2.0, -v43
	ds_write2_b32 v45, v6, v7 offset0:13 offset1:14
	ds_write_b96 v45, v[0:2] offset:80
	ds_write2_b32 v45, v22, v23 offset0:23 offset1:24
	ds_write2_b32 v45, v12, v13 offset0:25 offset1:26
	;; [unrolled: 1-line block ×4, first 2 shown]
	ds_write_b64 v45, v[8:9] offset:120
	s_waitcnt lgkmcnt(0)
	; wave barrier
	s_waitcnt lgkmcnt(0)
	ds_read2_b64 v[36:39], v46 offset1:48
	ds_read2_b64 v[32:35], v44 offset0:48 offset1:96
	ds_read2_b64 v[20:23], v46 offset0:96 offset1:144
	;; [unrolled: 1-line block ×3, first 2 shown]
	ds_read_b64 v[40:41], v66 offset:5632
	ds_read2st64_b64 v[12:15], v66 offset0:3 offset1:4
	ds_read2_b64 v[28:31], v66 offset1:48
	ds_read2_b64 v[24:27], v66 offset0:96 offset1:144
	s_load_dwordx2 s[12:13], s[0:1], 0x38
	v_cmp_lt_u16_e64 s[0:1], 15, v80
                                        ; implicit-def: $vgpr44
                                        ; implicit-def: $vgpr42
                                        ; implicit-def: $vgpr46
	s_and_saveexec_b64 s[2:3], vcc
	s_cbranch_execz .LBB0_3
; %bb.2:
	v_add_u32_e32 v0, 0x180, v66
	ds_read2st64_b64 v[8:11], v0 offset0:3 offset1:7
	ds_read_b64 v[42:43], v66 offset:6016
	s_waitcnt lgkmcnt(0)
	v_mov_b32_e32 v44, v11
	v_mov_b32_e32 v46, v43
.LBB0_3:
	s_or_b64 exec, exec, s[2:3]
	v_and_b32_e32 v64, 15, v80
	v_lshlrev_b32_e32 v0, 4, v64
	v_lshlrev_b32_e32 v1, 4, v80
	global_load_dwordx4 v[4:7], v0, s[10:11]
	v_and_b32_e32 v0, 0xf0, v1
	global_load_dwordx4 v[0:3], v0, s[10:11]
	v_add_u32_e32 v11, 48, v80
	v_add_u32_e32 v48, 0x60, v80
	v_lshrrev_b32_e32 v11, 4, v11
	v_lshrrev_b32_e32 v49, 4, v80
	v_lshrrev_b32_e32 v48, 4, v48
	v_mul_u32_u24_e32 v11, 48, v11
	v_or_b32_e32 v43, 4, v45
	v_mul_u32_u24_e32 v49, 48, v49
	v_mul_u32_u24_e32 v48, 48, v48
	v_or_b32_e32 v11, v11, v64
	v_or_b32_e32 v49, v49, v64
	v_or_b32_e32 v48, v48, v64
	v_lshlrev_b32_e32 v147, 3, v11
	v_lshlrev_b32_e32 v148, 3, v49
	;; [unrolled: 1-line block ×3, first 2 shown]
	s_mov_b32 s2, 0x3f5db3d7
	s_waitcnt lgkmcnt(0)
	; wave barrier
	s_waitcnt lgkmcnt(0)
	v_add_u32_e32 v65, 0x90, v80
	s_waitcnt vmcnt(1)
	v_mov_b32_e32 v105, v6
	v_mov_b32_e32 v112, v7
	;; [unrolled: 1-line block ×3, first 2 shown]
	s_waitcnt vmcnt(0)
	v_pk_mul_f32 v[6:7], v[10:11], v[0:1] op_sel_hi:[0,1]
	v_pk_mul_f32 v[10:11], v[42:43], v[2:3] op_sel_hi:[0,1]
	v_mov_b32_e32 v42, v105
	v_pk_mul_f32 v[48:49], v[36:37], v[112:113] op_sel_hi:[1,0]
	v_pk_mul_f32 v[50:51], v[32:33], v[104:105] op_sel_hi:[1,0]
	;; [unrolled: 1-line block ×4, first 2 shown]
	v_pk_fma_f32 v[56:57], v[44:45], v[0:1], v[6:7] op_sel:[0,0,1] op_sel_hi:[0,1,0]
	v_pk_fma_f32 v[6:7], v[44:45], v[0:1], v[6:7] op_sel:[0,0,1] op_sel_hi:[0,1,0] neg_lo:[1,0,0] neg_hi:[1,0,0]
	v_pk_fma_f32 v[58:59], v[46:47], v[2:3], v[10:11] op_sel:[0,0,1] op_sel_hi:[0,1,0]
	v_pk_fma_f32 v[10:11], v[46:47], v[2:3], v[10:11] op_sel:[0,0,1] op_sel_hi:[0,1,0] neg_lo:[1,0,0] neg_hi:[1,0,0]
	v_pk_mul_f32 v[60:61], v[14:15], v[104:105] op_sel_hi:[1,0]
	v_pk_fma_f32 v[62:63], v[36:37], v[42:43], v[48:49] op_sel:[0,0,1] op_sel_hi:[1,1,0] neg_lo:[0,0,1] neg_hi:[0,0,1]
	v_pk_fma_f32 v[36:37], v[36:37], v[104:105], v[48:49] op_sel:[0,1,1] op_sel_hi:[1,1,0]
	v_pk_fma_f32 v[48:49], v[38:39], v[42:43], v[52:53] op_sel:[0,0,1] op_sel_hi:[1,1,0] neg_lo:[0,0,1] neg_hi:[0,0,1]
	v_pk_fma_f32 v[38:39], v[38:39], v[104:105], v[52:53] op_sel:[0,1,1] op_sel_hi:[1,1,0]
	;; [unrolled: 2-line block ×4, first 2 shown]
	v_mov_b32_e32 v57, v7
	v_mov_b32_e32 v59, v11
	;; [unrolled: 1-line block ×6, first 2 shown]
	v_pk_fma_f32 v[54:55], v[14:15], v[4:5], v[60:61] op_sel:[0,0,1] op_sel_hi:[1,1,0] neg_lo:[0,0,1] neg_hi:[0,0,1]
	v_pk_fma_f32 v[14:15], v[14:15], v[4:5], v[60:61] op_sel:[0,0,1] op_sel_hi:[1,0,0]
	v_mov_b32_e32 v63, v37
	v_mov_b32_e32 v55, v15
	v_pk_add_f32 v[14:15], v[6:7], v[10:11]
	v_pk_add_f32 v[56:57], v[56:57], v[58:59] neg_lo:[0,1] neg_hi:[0,1]
	v_mov_b32_e32 v53, v33
	v_mov_b32_e32 v49, v39
	;; [unrolled: 1-line block ×3, first 2 shown]
	v_pk_fma_f32 v[14:15], v[14:15], 0.5, v[8:9] op_sel_hi:[1,0,1] neg_lo:[1,0,0] neg_hi:[1,0,0]
	v_pk_add_f32 v[32:33], v[28:29], v[54:55]
	v_pk_add_f32 v[34:35], v[54:55], v[62:63]
	v_pk_add_f32 v[36:37], v[54:55], v[62:63] neg_lo:[0,1] neg_hi:[0,1]
	v_pk_add_f32 v[38:39], v[30:31], v[52:53]
	v_pk_add_f32 v[54:55], v[52:53], v[48:49]
	v_pk_add_f32 v[52:53], v[52:53], v[48:49] neg_lo:[0,1] neg_hi:[0,1]
	v_pk_fma_f32 v[106:107], v[56:57], s[2:3], v[14:15] op_sel_hi:[1,0,1] neg_lo:[1,0,0] neg_hi:[1,0,0]
	v_pk_fma_f32 v[108:109], v[56:57], s[2:3], v[14:15] op_sel_hi:[1,0,1]
	v_pk_add_f32 v[14:15], v[32:33], v[62:63]
	v_pk_fma_f32 v[28:29], v[34:35], 0.5, v[28:29] op_sel_hi:[1,0,1] neg_lo:[1,0,0] neg_hi:[1,0,0]
	v_pk_mul_f32 v[32:33], v[36:37], s[2:3] op_sel_hi:[1,0]
	v_pk_add_f32 v[34:35], v[38:39], v[48:49]
	v_pk_fma_f32 v[30:31], v[54:55], 0.5, v[30:31] op_sel_hi:[1,0,1] neg_lo:[1,0,0] neg_hi:[1,0,0]
	v_pk_mul_f32 v[36:37], v[52:53], s[2:3] op_sel_hi:[1,0]
	v_pk_add_f32 v[38:39], v[28:29], v[32:33] op_sel:[0,1] op_sel_hi:[1,0]
	v_pk_add_f32 v[28:29], v[28:29], v[32:33] op_sel:[0,1] op_sel_hi:[1,0] neg_lo:[0,1] neg_hi:[0,1]
	v_pk_add_f32 v[32:33], v[30:31], v[36:37] op_sel:[0,1] op_sel_hi:[1,0]
	v_pk_add_f32 v[30:31], v[30:31], v[36:37] op_sel:[0,1] op_sel_hi:[1,0] neg_lo:[0,1] neg_hi:[0,1]
	v_mov_b32_e32 v36, v38
	v_mov_b32_e32 v37, v29
	v_mov_b32_e32 v29, v39
	v_mov_b32_e32 v38, v32
	v_mov_b32_e32 v39, v31
	v_mov_b32_e32 v31, v33
	ds_write2_b64 v148, v[14:15], v[36:37] offset1:16
	ds_write_b64 v148, v[28:29] offset:256
	ds_write2_b64 v147, v[34:35], v[38:39] offset1:16
	ds_write_b64 v147, v[30:31] offset:256
	v_pk_mul_f32 v[14:15], v[20:21], v[112:113] op_sel_hi:[1,0]
	v_lshrrev_b32_e32 v5, 4, v65
	v_pk_fma_f32 v[28:29], v[20:21], v[42:43], v[14:15] op_sel:[0,0,1] op_sel_hi:[1,1,0] neg_lo:[0,0,1] neg_hi:[0,0,1]
	v_pk_fma_f32 v[14:15], v[20:21], v[104:105], v[14:15] op_sel:[0,1,1] op_sel_hi:[1,1,0]
	v_mul_u32_u24_e32 v5, 48, v5
	v_mov_b32_e32 v29, v15
	v_pk_add_f32 v[20:21], v[50:51], v[28:29]
	v_pk_add_f32 v[14:15], v[24:25], v[50:51]
	v_pk_fma_f32 v[20:21], v[20:21], 0.5, v[24:25] op_sel_hi:[1,0,1] neg_lo:[1,0,0] neg_hi:[1,0,0]
	v_pk_add_f32 v[24:25], v[50:51], v[28:29] neg_lo:[0,1] neg_hi:[0,1]
	v_pk_add_f32 v[14:15], v[14:15], v[28:29]
	v_pk_mul_f32 v[24:25], v[24:25], s[2:3] op_sel_hi:[1,0]
	v_or_b32_e32 v5, v5, v64
	v_pk_add_f32 v[28:29], v[20:21], v[24:25] op_sel:[0,1] op_sel_hi:[1,0]
	v_pk_add_f32 v[20:21], v[20:21], v[24:25] op_sel:[0,1] op_sel_hi:[1,0] neg_lo:[0,1] neg_hi:[0,1]
	v_mov_b32_e32 v24, v28
	v_mov_b32_e32 v25, v21
	ds_write2_b64 v146, v[14:15], v[24:25] offset1:16
	v_mov_b32_e32 v21, v29
	v_pk_mul_f32 v[14:15], v[16:17], v[104:105] op_sel_hi:[1,0]
	ds_write_b64 v146, v[20:21] offset:256
	v_pk_fma_f32 v[20:21], v[16:17], v[4:5], v[14:15] op_sel:[0,0,1] op_sel_hi:[1,1,0] neg_lo:[0,0,1] neg_hi:[0,0,1]
	v_pk_fma_f32 v[14:15], v[16:17], v[4:5], v[14:15] op_sel:[0,0,1] op_sel_hi:[1,0,0]
	v_lshlrev_b32_e32 v149, 3, v5
	v_mov_b32_e32 v21, v15
	v_pk_mul_f32 v[14:15], v[22:23], v[112:113] op_sel_hi:[1,0]
	v_lshrrev_b32_e32 v5, 4, v81
	v_pk_fma_f32 v[16:17], v[22:23], v[42:43], v[14:15] op_sel:[0,0,1] op_sel_hi:[1,1,0] neg_lo:[0,0,1] neg_hi:[0,0,1]
	v_pk_fma_f32 v[14:15], v[22:23], v[104:105], v[14:15] op_sel:[0,1,1] op_sel_hi:[1,1,0]
	v_mul_u32_u24_e32 v5, 48, v5
	v_mov_b32_e32 v17, v15
	v_pk_add_f32 v[14:15], v[26:27], v[20:21]
	v_pk_add_f32 v[22:23], v[20:21], v[16:17]
	;; [unrolled: 1-line block ×3, first 2 shown]
	v_pk_add_f32 v[16:17], v[20:21], v[16:17] neg_lo:[0,1] neg_hi:[0,1]
	v_pk_fma_f32 v[22:23], v[22:23], 0.5, v[26:27] op_sel_hi:[1,0,1] neg_lo:[1,0,0] neg_hi:[1,0,0]
	v_pk_mul_f32 v[16:17], v[16:17], s[2:3] op_sel_hi:[1,0]
	v_or_b32_e32 v5, v5, v64
	v_pk_add_f32 v[20:21], v[22:23], v[16:17] op_sel:[0,1] op_sel_hi:[1,0]
	v_pk_add_f32 v[16:17], v[22:23], v[16:17] op_sel:[0,1] op_sel_hi:[1,0] neg_lo:[0,1] neg_hi:[0,1]
	v_mov_b32_e32 v22, v20
	v_mov_b32_e32 v23, v17
	ds_write2_b64 v149, v[14:15], v[22:23] offset1:16
	v_mov_b32_e32 v17, v21
	v_pk_mul_f32 v[14:15], v[18:19], v[104:105] op_sel_hi:[1,0]
	ds_write_b64 v149, v[16:17] offset:256
	v_pk_fma_f32 v[16:17], v[18:19], v[4:5], v[14:15] op_sel:[0,0,1] op_sel_hi:[1,1,0] neg_lo:[0,0,1] neg_hi:[0,0,1]
	v_pk_fma_f32 v[14:15], v[18:19], v[4:5], v[14:15] op_sel:[0,0,1] op_sel_hi:[1,0,0]
	v_lshlrev_b32_e32 v150, 3, v5
	v_mov_b32_e32 v17, v15
	v_pk_mul_f32 v[14:15], v[40:41], v[112:113] op_sel_hi:[1,0]
	s_nop 0
	v_pk_fma_f32 v[18:19], v[40:41], v[42:43], v[14:15] op_sel:[0,0,1] op_sel_hi:[1,1,0] neg_lo:[0,0,1] neg_hi:[0,0,1]
	v_pk_fma_f32 v[14:15], v[40:41], v[104:105], v[14:15] op_sel:[0,1,1] op_sel_hi:[1,1,0]
	s_nop 0
	v_mov_b32_e32 v19, v15
	v_pk_add_f32 v[14:15], v[12:13], v[16:17]
	v_pk_add_f32 v[20:21], v[16:17], v[18:19]
	v_pk_add_f32 v[16:17], v[16:17], v[18:19] neg_lo:[0,1] neg_hi:[0,1]
	v_pk_fma_f32 v[12:13], v[20:21], 0.5, v[12:13] op_sel_hi:[1,0,1] neg_lo:[1,0,0] neg_hi:[1,0,0]
	v_pk_mul_f32 v[16:17], v[16:17], s[2:3] op_sel_hi:[1,0]
	v_pk_add_f32 v[14:15], v[14:15], v[18:19]
	v_pk_add_f32 v[18:19], v[12:13], v[16:17] op_sel:[0,1] op_sel_hi:[1,0]
	v_pk_add_f32 v[12:13], v[12:13], v[16:17] op_sel:[0,1] op_sel_hi:[1,0] neg_lo:[0,1] neg_hi:[0,1]
	v_mov_b32_e32 v16, v18
	v_mov_b32_e32 v17, v13
	;; [unrolled: 1-line block ×3, first 2 shown]
	ds_write2_b64 v150, v[14:15], v[16:17] offset1:16
	ds_write_b64 v150, v[12:13] offset:256
	s_and_saveexec_b64 s[2:3], vcc
	s_cbranch_execz .LBB0_5
; %bb.4:
	v_pk_add_f32 v[6:7], v[8:9], v[6:7]
	v_mov_b32_e32 v8, v108
	v_pk_add_f32 v[6:7], v[6:7], v[10:11]
	v_mov_b32_e32 v9, v107
	v_add_u32_e32 v5, 0x1000, v66
	ds_write2_b64 v5, v[6:7], v[8:9] offset0:208 offset1:224
	v_mov_b32_e32 v6, v106
	v_mov_b32_e32 v7, v109
	ds_write_b64 v66, v[6:7] offset:6016
.LBB0_5:
	s_or_b64 exec, exec, s[2:3]
	s_movk_i32 s2, 0x78
	v_mov_b64_e32 v[6:7], s[10:11]
	v_mad_u64_u32 v[34:35], s[2:3], v80, s2, v[6:7]
	s_waitcnt lgkmcnt(0)
	; wave barrier
	s_waitcnt lgkmcnt(0)
	global_load_dwordx4 v[30:33], v[34:35], off offset:256
	global_load_dwordx4 v[26:29], v[34:35], off offset:272
	;; [unrolled: 1-line block ×7, first 2 shown]
	global_load_dwordx2 v[110:111], v[34:35], off offset:368
	ds_read2_b64 v[38:41], v66 offset1:48
	ds_read2_b64 v[48:51], v66 offset0:96 offset1:144
	ds_read2_b64 v[52:55], v66 offset0:192 offset1:240
	v_add_u32_e32 v5, 0x800, v66
	v_add_u32_e32 v34, 0xc00, v66
	;; [unrolled: 1-line block ×3, first 2 shown]
	ds_read2_b64 v[56:59], v5 offset0:32 offset1:80
	ds_read2_b64 v[60:63], v5 offset0:128 offset1:176
	;; [unrolled: 1-line block ×5, first 2 shown]
	s_add_u32 s16, s8, 0x1800
	s_mov_b32 s8, 0x3f3504f3
	s_mov_b32 s10, 0x3ec3ef15
	s_addc_u32 s17, s9, 0
	s_movk_i32 s2, 0x1000
	s_waitcnt vmcnt(7) lgkmcnt(7)
	v_pk_mul_f32 v[64:65], v[40:41], v[30:31] op_sel:[0,1]
	v_mov_b32_e32 v42, v33
	s_waitcnt vmcnt(6) lgkmcnt(6)
	v_pk_mul_f32 v[126:127], v[50:51], v[26:27] op_sel:[0,1]
	v_mov_b32_e32 v44, v29
	v_pk_fma_f32 v[152:153], v[40:41], v[30:31], v[64:65] op_sel:[0,0,1] op_sel_hi:[1,1,0] neg_lo:[0,0,1] neg_hi:[0,0,1]
	v_pk_fma_f32 v[40:41], v[40:41], v[30:31], v[64:65] op_sel:[0,0,1] op_sel_hi:[1,0,0]
	v_pk_mul_f32 v[64:65], v[48:49], v[42:43] op_sel_hi:[1,0]
	s_waitcnt vmcnt(1)
	v_mov_b32_e32 v144, v9
	v_pk_fma_f32 v[154:155], v[50:51], v[26:27], v[126:127] op_sel:[0,0,1] op_sel_hi:[1,1,0] neg_lo:[0,0,1] neg_hi:[0,0,1]
	v_pk_fma_f32 v[50:51], v[50:51], v[26:27], v[126:127] op_sel:[0,0,1] op_sel_hi:[1,0,0]
	s_waitcnt lgkmcnt(5)
	v_pk_mul_f32 v[126:127], v[52:53], v[44:45] op_sel_hi:[1,0]
	v_mov_b32_e32 v153, v41
	v_pk_fma_f32 v[40:41], v[48:49], v[32:33], v[64:65] op_sel:[0,0,1] op_sel_hi:[1,1,0] neg_lo:[0,0,1] neg_hi:[0,0,1]
	v_pk_fma_f32 v[48:49], v[48:49], v[32:33], v[64:65] op_sel:[0,0,1] op_sel_hi:[1,0,0]
	v_pk_mul_f32 v[128:129], v[54:55], v[22:23] op_sel:[0,1]
	v_mov_b32_e32 v46, v25
	s_waitcnt lgkmcnt(4)
	v_pk_mul_f32 v[130:131], v[58:59], v[14:15] op_sel:[0,1]
	v_mov_b32_e32 v132, v17
	s_waitcnt lgkmcnt(3)
	;; [unrolled: 3-line block ×3, first 2 shown]
	v_pk_mul_f32 v[138:139], v[116:117], v[10:11] op_sel:[0,1]
	v_mov_b32_e32 v140, v13
	v_mov_b32_e32 v155, v51
	v_pk_fma_f32 v[50:51], v[52:53], v[28:29], v[126:127] op_sel:[0,0,1] op_sel_hi:[1,1,0] neg_lo:[0,0,1] neg_hi:[0,0,1]
	v_pk_fma_f32 v[52:53], v[52:53], v[28:29], v[126:127] op_sel:[0,0,1] op_sel_hi:[1,0,0]
	v_mov_b32_e32 v41, v49
	s_waitcnt lgkmcnt(0)
	v_pk_mul_f32 v[48:49], v[122:123], v[144:145] op_sel_hi:[1,0]
	v_pk_fma_f32 v[156:157], v[54:55], v[22:23], v[128:129] op_sel:[0,0,1] op_sel_hi:[1,1,0] neg_lo:[0,0,1] neg_hi:[0,0,1]
	v_pk_fma_f32 v[54:55], v[54:55], v[22:23], v[128:129] op_sel:[0,0,1] op_sel_hi:[1,0,0]
	v_pk_mul_f32 v[128:129], v[56:57], v[46:47] op_sel_hi:[1,0]
	v_pk_fma_f32 v[158:159], v[58:59], v[14:15], v[130:131] op_sel:[0,0,1] op_sel_hi:[1,1,0] neg_lo:[0,0,1] neg_hi:[0,0,1]
	v_pk_fma_f32 v[58:59], v[58:59], v[14:15], v[130:131] op_sel:[0,0,1] op_sel_hi:[1,0,0]
	;; [unrolled: 3-line block ×4, first 2 shown]
	v_pk_mul_f32 v[138:139], v[118:119], v[140:141] op_sel_hi:[1,0]
	v_mov_b32_e32 v51, v53
	v_pk_fma_f32 v[52:53], v[122:123], v[8:9], v[48:49] op_sel:[0,0,1] op_sel_hi:[1,1,0] neg_lo:[0,0,1] neg_hi:[0,0,1]
	v_pk_fma_f32 v[48:49], v[122:123], v[8:9], v[48:49] op_sel:[0,0,1] op_sel_hi:[1,0,0]
	v_mov_b32_e32 v157, v55
	v_pk_fma_f32 v[54:55], v[56:57], v[24:25], v[128:129] op_sel:[0,0,1] op_sel_hi:[1,1,0] neg_lo:[0,0,1] neg_hi:[0,0,1]
	v_pk_fma_f32 v[56:57], v[56:57], v[24:25], v[128:129] op_sel:[0,0,1] op_sel_hi:[1,0,0]
	;; [unrolled: 3-line block ×5, first 2 shown]
	v_mov_b32_e32 v53, v49
	s_waitcnt vmcnt(0)
	v_pk_mul_f32 v[48:49], v[124:125], v[110:111] op_sel:[0,1]
	v_mov_b32_e32 v55, v57
	v_mov_b32_e32 v59, v61
	;; [unrolled: 1-line block ×3, first 2 shown]
	v_pk_fma_f32 v[56:57], v[124:125], v[110:111], v[48:49] op_sel:[0,0,1] op_sel_hi:[1,1,0] neg_lo:[0,0,1] neg_hi:[0,0,1]
	v_pk_fma_f32 v[48:49], v[124:125], v[110:111], v[48:49] op_sel:[0,0,1] op_sel_hi:[1,0,0]
	v_pk_mul_f32 v[142:143], v[120:121], v[6:7] op_sel:[0,1]
	v_mov_b32_e32 v63, v65
	v_mov_b32_e32 v57, v49
	v_pk_add_f32 v[48:49], v[38:39], v[58:59] neg_lo:[0,1] neg_hi:[0,1]
	v_pk_add_f32 v[58:59], v[50:51], v[114:115] neg_lo:[0,1] neg_hi:[0,1]
	v_pk_fma_f32 v[140:141], v[120:121], v[6:7], v[142:143] op_sel:[0,0,1] op_sel_hi:[1,1,0] neg_lo:[0,0,1] neg_hi:[0,0,1]
	v_pk_fma_f32 v[120:121], v[120:121], v[6:7], v[142:143] op_sel:[0,0,1] op_sel_hi:[1,0,0]
	v_pk_fma_f32 v[50:51], v[50:51], 2.0, v[58:59] op_sel_hi:[1,0,1] neg_lo:[0,0,1] neg_hi:[0,0,1]
	v_pk_add_f32 v[60:61], v[40:41], v[62:63] neg_lo:[0,1] neg_hi:[0,1]
	v_pk_add_f32 v[52:53], v[54:55], v[52:53] neg_lo:[0,1] neg_hi:[0,1]
	v_pk_add_f32 v[124:125], v[48:49], v[58:59] op_sel:[0,1] op_sel_hi:[1,0] neg_lo:[0,1] neg_hi:[0,1]
	v_pk_add_f32 v[58:59], v[48:49], v[58:59] op_sel:[0,1] op_sel_hi:[1,0]
	v_mov_b32_e32 v141, v121
	v_pk_fma_f32 v[54:55], v[54:55], 2.0, v[52:53] op_sel_hi:[1,0,1] neg_lo:[0,0,1] neg_hi:[0,0,1]
	v_mov_b32_e32 v125, v59
	v_pk_add_f32 v[58:59], v[60:61], v[52:53] op_sel:[0,1] op_sel_hi:[1,0] neg_lo:[0,1] neg_hi:[0,1]
	v_pk_add_f32 v[52:53], v[60:61], v[52:53] op_sel:[0,1] op_sel_hi:[1,0]
	v_pk_add_f32 v[62:63], v[152:153], v[132:133] neg_lo:[0,1] neg_hi:[0,1]
	v_pk_add_f32 v[114:115], v[156:157], v[140:141] neg_lo:[0,1] neg_hi:[0,1]
	v_mov_b32_e32 v59, v53
	v_pk_fma_f32 v[40:41], v[40:41], 2.0, v[60:61] op_sel_hi:[1,0,1] neg_lo:[0,0,1] neg_hi:[0,0,1]
	v_pk_fma_f32 v[116:117], v[156:157], 2.0, v[114:115] op_sel_hi:[1,0,1] neg_lo:[0,0,1] neg_hi:[0,0,1]
	v_pk_add_f32 v[118:119], v[154:155], v[136:137] neg_lo:[0,1] neg_hi:[0,1]
	v_pk_add_f32 v[56:57], v[158:159], v[56:57] neg_lo:[0,1] neg_hi:[0,1]
	v_pk_fma_f32 v[52:53], v[60:61], 2.0, v[58:59] op_sel_hi:[1,0,1] neg_lo:[0,0,1] neg_hi:[0,0,1]
	v_pk_add_f32 v[60:61], v[62:63], v[114:115] op_sel:[0,1] op_sel_hi:[1,0] neg_lo:[0,1] neg_hi:[0,1]
	v_pk_add_f32 v[114:115], v[62:63], v[114:115] op_sel:[0,1] op_sel_hi:[1,0]
	v_pk_fma_f32 v[122:123], v[158:159], 2.0, v[56:57] op_sel_hi:[1,0,1] neg_lo:[0,0,1] neg_hi:[0,0,1]
	v_mov_b32_e32 v61, v115
	v_pk_add_f32 v[114:115], v[118:119], v[56:57] op_sel:[0,1] op_sel_hi:[1,0] neg_lo:[0,1] neg_hi:[0,1]
	v_pk_add_f32 v[56:57], v[118:119], v[56:57] op_sel:[0,1] op_sel_hi:[1,0]
	v_pk_fma_f32 v[38:39], v[38:39], 2.0, v[48:49] op_sel_hi:[1,0,1] neg_lo:[0,0,1] neg_hi:[0,0,1]
	v_pk_fma_f32 v[48:49], v[48:49], 2.0, v[124:125] op_sel_hi:[1,0,1] neg_lo:[0,0,1] neg_hi:[0,0,1]
	v_mov_b32_e32 v115, v57
	v_pk_fma_f32 v[64:65], v[152:153], 2.0, v[62:63] op_sel_hi:[1,0,1] neg_lo:[0,0,1] neg_hi:[0,0,1]
	v_pk_fma_f32 v[120:121], v[154:155], 2.0, v[118:119] op_sel_hi:[1,0,1] neg_lo:[0,0,1] neg_hi:[0,0,1]
	;; [unrolled: 1-line block ×4, first 2 shown]
	v_pk_mul_f32 v[118:119], v[52:53], s[8:9] op_sel_hi:[1,0]
	v_pk_fma_f32 v[52:53], v[52:53], s[8:9], v[48:49] op_sel_hi:[1,0,1] neg_lo:[1,0,0] neg_hi:[1,0,0]
	v_pk_add_f32 v[50:51], v[38:39], v[50:51] neg_lo:[0,1] neg_hi:[0,1]
	v_pk_add_f32 v[126:127], v[52:53], v[118:119] op_sel:[0,1] op_sel_hi:[1,0] neg_lo:[0,1] neg_hi:[0,1]
	v_pk_add_f32 v[52:53], v[52:53], v[118:119] op_sel:[0,1] op_sel_hi:[1,0]
	v_pk_mul_f32 v[118:119], v[56:57], s[8:9] op_sel_hi:[1,0]
	v_pk_fma_f32 v[56:57], v[56:57], s[8:9], v[62:63] op_sel_hi:[1,0,1] neg_lo:[1,0,0] neg_hi:[1,0,0]
	v_pk_add_f32 v[54:55], v[40:41], v[54:55] neg_lo:[0,1] neg_hi:[0,1]
	v_pk_add_f32 v[128:129], v[56:57], v[118:119] op_sel:[0,1] op_sel_hi:[1,0] neg_lo:[0,1] neg_hi:[0,1]
	v_pk_add_f32 v[56:57], v[56:57], v[118:119] op_sel:[0,1] op_sel_hi:[1,0]
	v_pk_add_f32 v[116:117], v[64:65], v[116:117] neg_lo:[0,1] neg_hi:[0,1]
	v_pk_add_f32 v[122:123], v[120:121], v[122:123] neg_lo:[0,1] neg_hi:[0,1]
	v_mov_b32_e32 v127, v53
	v_mov_b32_e32 v129, v57
	v_pk_fma_f32 v[38:39], v[38:39], 2.0, v[50:51] op_sel_hi:[1,0,1] neg_lo:[0,0,1] neg_hi:[0,0,1]
	v_pk_fma_f32 v[40:41], v[40:41], 2.0, v[54:55] op_sel_hi:[1,0,1] neg_lo:[0,0,1] neg_hi:[0,0,1]
	;; [unrolled: 1-line block ×6, first 2 shown]
	v_pk_add_f32 v[40:41], v[38:39], v[40:41] neg_lo:[0,1] neg_hi:[0,1]
	v_pk_add_f32 v[120:121], v[64:65], v[120:121] neg_lo:[0,1] neg_hi:[0,1]
	v_pk_fma_f32 v[118:119], v[62:63], s[14:15], v[48:49] op_sel_hi:[1,0,1] neg_lo:[1,0,0] neg_hi:[1,0,0]
	v_pk_mul_f32 v[62:63], v[62:63], s[10:11] op_sel_hi:[1,0]
	v_pk_fma_f32 v[38:39], v[38:39], 2.0, v[40:41] op_sel_hi:[1,0,1] neg_lo:[0,0,1] neg_hi:[0,0,1]
	v_pk_fma_f32 v[64:65], v[64:65], 2.0, v[120:121] op_sel_hi:[1,0,1] neg_lo:[0,0,1] neg_hi:[0,0,1]
	v_pk_add_f32 v[130:131], v[118:119], v[62:63] op_sel:[0,1] op_sel_hi:[1,0] neg_lo:[0,1] neg_hi:[0,1]
	v_pk_add_f32 v[62:63], v[118:119], v[62:63] op_sel:[0,1] op_sel_hi:[1,0]
	v_pk_add_f32 v[64:65], v[38:39], v[64:65] neg_lo:[0,1] neg_hi:[0,1]
	v_mov_b32_e32 v131, v63
	v_pk_fma_f32 v[38:39], v[38:39], 2.0, v[64:65] op_sel_hi:[1,0,1] neg_lo:[0,0,1] neg_hi:[0,0,1]
	v_pk_fma_f32 v[48:49], v[48:49], 2.0, v[130:131] op_sel_hi:[1,0,1] neg_lo:[0,0,1] neg_hi:[0,0,1]
	ds_write2_b64 v66, v[38:39], v[48:49] offset1:48
	v_pk_add_f32 v[38:39], v[50:51], v[54:55] op_sel:[0,1] op_sel_hi:[1,0] neg_lo:[0,1] neg_hi:[0,1]
	v_pk_add_f32 v[48:49], v[50:51], v[54:55] op_sel:[0,1] op_sel_hi:[1,0]
	v_pk_add_f32 v[54:55], v[116:117], v[122:123] op_sel:[0,1] op_sel_hi:[1,0]
	v_mov_b32_e32 v39, v49
	v_pk_fma_f32 v[48:49], v[50:51], 2.0, v[38:39] op_sel_hi:[1,0,1] neg_lo:[0,0,1] neg_hi:[0,0,1]
	v_pk_add_f32 v[50:51], v[116:117], v[122:123] op_sel:[0,1] op_sel_hi:[1,0] neg_lo:[0,1] neg_hi:[0,1]
	v_fmamk_f32 v62, v128, 0x3ec3ef15, v126
	v_mov_b32_e32 v51, v55
	v_pk_fma_f32 v[54:55], v[116:117], 2.0, v[50:51] op_sel_hi:[1,0,1] neg_lo:[0,0,1] neg_hi:[0,0,1]
	v_fmamk_f32 v63, v57, 0x3ec3ef15, v53
	v_fmac_f32_e32 v62, 0xbf6c835e, v57
	v_pk_mul_f32 v[56:57], v[54:55], s[8:9] op_sel_hi:[1,0]
	v_pk_fma_f32 v[54:55], v[54:55], s[8:9], v[48:49] op_sel_hi:[1,0,1] neg_lo:[1,0,0] neg_hi:[1,0,0]
	v_pk_mul_f32 v[118:119], v[114:115], s[8:9] op_sel_hi:[1,0]
	v_pk_add_f32 v[116:117], v[54:55], v[56:57] op_sel:[0,1] op_sel_hi:[1,0] neg_lo:[0,1] neg_hi:[0,1]
	v_pk_add_f32 v[54:55], v[54:55], v[56:57] op_sel:[0,1] op_sel_hi:[1,0]
	v_pk_fma_f32 v[56:57], v[58:59], s[8:9], v[124:125] op_sel_hi:[1,0,1]
	v_mov_b32_e32 v117, v55
	v_pk_mul_f32 v[54:55], v[58:59], s[8:9] op_sel_hi:[1,0]
	v_pk_fma_f32 v[114:115], v[114:115], s[8:9], v[60:61] op_sel_hi:[1,0,1]
	v_pk_add_f32 v[58:59], v[56:57], v[54:55] op_sel:[0,1] op_sel_hi:[1,0] neg_lo:[0,1] neg_hi:[0,1]
	v_pk_add_f32 v[54:55], v[56:57], v[54:55] op_sel:[0,1] op_sel_hi:[1,0]
	v_pk_add_f32 v[122:123], v[114:115], v[118:119] op_sel:[0,1] op_sel_hi:[1,0] neg_lo:[0,1] neg_hi:[0,1]
	v_pk_add_f32 v[114:115], v[114:115], v[118:119] op_sel:[0,1] op_sel_hi:[1,0]
	v_mov_b32_e32 v59, v55
	v_mov_b32_e32 v123, v115
	v_pk_fma_f32 v[56:57], v[124:125], 2.0, v[58:59] op_sel_hi:[1,0,1] neg_lo:[0,0,1] neg_hi:[0,0,1]
	v_pk_fma_f32 v[60:61], v[60:61], 2.0, v[122:123] op_sel_hi:[1,0,1] neg_lo:[0,0,1] neg_hi:[0,0,1]
	;; [unrolled: 1-line block ×3, first 2 shown]
	v_pk_fma_f32 v[118:119], v[60:61], s[10:11], v[56:57] op_sel_hi:[1,0,1] neg_lo:[1,0,0] neg_hi:[1,0,0]
	v_pk_mul_f32 v[60:61], v[60:61], s[14:15] op_sel_hi:[1,0]
	v_fmac_f32_e32 v63, 0x3f6c835e, v128
	v_pk_add_f32 v[124:125], v[118:119], v[60:61] op_sel:[0,1] op_sel_hi:[1,0] neg_lo:[0,1] neg_hi:[0,1]
	v_pk_add_f32 v[60:61], v[118:119], v[60:61] op_sel:[0,1] op_sel_hi:[1,0]
	v_fma_f32 v52, v126, 2.0, -v62
	v_mov_b32_e32 v125, v61
	v_pk_fma_f32 v[56:57], v[56:57], 2.0, v[124:125] op_sel_hi:[1,0,1] neg_lo:[0,0,1] neg_hi:[0,0,1]
	ds_write2_b64 v66, v[48:49], v[56:57] offset0:96 offset1:144
	v_pk_add_f32 v[48:49], v[40:41], v[120:121] op_sel:[0,1] op_sel_hi:[1,0] neg_lo:[0,1] neg_hi:[0,1]
	v_pk_add_f32 v[56:57], v[40:41], v[120:121] op_sel:[0,1] op_sel_hi:[1,0]
	v_fma_f32 v53, v53, 2.0, -v63
	v_mov_b32_e32 v49, v57
	v_pk_fma_f32 v[40:41], v[40:41], 2.0, v[48:49] op_sel_hi:[1,0,1] neg_lo:[0,0,1] neg_hi:[0,0,1]
	ds_write2_b64 v66, v[40:41], v[52:53] offset0:192 offset1:240
	v_pk_mul_f32 v[40:41], v[50:51], s[8:9] op_sel_hi:[1,0]
	v_pk_fma_f32 v[50:51], v[50:51], s[8:9], v[38:39] op_sel_hi:[1,0,1]
	v_fmamk_f32 v60, v122, 0x3f6c835e, v58
	v_fmamk_f32 v61, v115, 0x3f6c835e, v55
	v_pk_add_f32 v[52:53], v[50:51], v[40:41] op_sel:[0,1] op_sel_hi:[1,0] neg_lo:[0,1] neg_hi:[0,1]
	v_pk_add_f32 v[40:41], v[50:51], v[40:41] op_sel:[0,1] op_sel_hi:[1,0]
	v_fmac_f32_e32 v60, 0xbec3ef15, v115
	v_fmac_f32_e32 v61, 0x3ec3ef15, v122
	v_mov_b32_e32 v53, v41
	v_fma_f32 v54, v58, 2.0, -v60
	v_fma_f32 v55, v55, 2.0, -v61
	v_pk_fma_f32 v[38:39], v[38:39], 2.0, v[52:53] op_sel_hi:[1,0,1] neg_lo:[0,0,1] neg_hi:[0,0,1]
	ds_write2_b64 v5, v[38:39], v[54:55] offset0:32 offset1:80
	ds_write2_b64 v5, v[64:65], v[130:131] offset0:128 offset1:176
	;; [unrolled: 1-line block ×5, first 2 shown]
	v_lshlrev_b32_e32 v38, 3, v80
	s_waitcnt lgkmcnt(0)
	; wave barrier
	s_waitcnt lgkmcnt(0)
	global_load_dwordx2 v[48:49], v38, s[16:17]
	global_load_dwordx2 v[50:51], v38, s[16:17] offset:384
	global_load_dwordx2 v[52:53], v38, s[16:17] offset:768
	global_load_dwordx2 v[54:55], v38, s[16:17] offset:1152
	global_load_dwordx2 v[56:57], v38, s[16:17] offset:1536
	global_load_dwordx2 v[58:59], v38, s[16:17] offset:1920
	global_load_dwordx2 v[60:61], v38, s[16:17] offset:2304
	global_load_dwordx2 v[62:63], v38, s[16:17] offset:2688
	global_load_dwordx2 v[64:65], v38, s[16:17] offset:3072
	global_load_dwordx2 v[114:115], v38, s[16:17] offset:3456
	v_mov_b32_e32 v39, 0
	global_load_dwordx2 v[116:117], v38, s[16:17] offset:3840
	v_lshl_add_u64 v[40:41], s[16:17], 0, v[38:39]
	v_add_co_u32_e64 v118, s[2:3], s2, v40
	s_nop 1
	v_addc_co_u32_e64 v119, s[2:3], 0, v41, s[2:3]
	global_load_dwordx2 v[120:121], v[118:119], off offset:128
	global_load_dwordx2 v[122:123], v[118:119], off offset:896
	;; [unrolled: 1-line block ×3, first 2 shown]
	global_load_dwordx2 v[126:127], v47, s[16:17]
	ds_read2_b64 v[38:41], v66 offset1:48
	global_load_dwordx2 v[118:119], v[118:119], off offset:1664
	s_waitcnt vmcnt(15) lgkmcnt(0)
	v_mul_f32_e32 v35, v39, v49
	v_mul_f32_e32 v47, v38, v49
	v_fma_f32 v46, v38, v48, -v35
	v_fmac_f32_e32 v47, v39, v48
	s_waitcnt vmcnt(14)
	v_mul_f32_e32 v35, v41, v51
	v_mul_f32_e32 v39, v40, v51
	v_fma_f32 v38, v40, v50, -v35
	v_fmac_f32_e32 v39, v41, v50
	ds_write2_b64 v66, v[46:47], v[38:39] offset1:48
	ds_read2_b64 v[38:41], v66 offset0:96 offset1:144
	ds_read2_b64 v[46:49], v66 offset0:192 offset1:240
	s_waitcnt vmcnt(13) lgkmcnt(1)
	v_mul_f32_e32 v35, v39, v53
	v_mul_f32_e32 v51, v38, v53
	v_fma_f32 v50, v38, v52, -v35
	v_fmac_f32_e32 v51, v39, v52
	s_waitcnt vmcnt(12)
	v_mul_f32_e32 v35, v41, v55
	v_mul_f32_e32 v39, v40, v55
	v_fma_f32 v38, v40, v54, -v35
	v_fmac_f32_e32 v39, v41, v54
	ds_write2_b64 v66, v[50:51], v[38:39] offset0:96 offset1:144
	ds_read2_b64 v[38:41], v5 offset0:32 offset1:80
	s_waitcnt vmcnt(11) lgkmcnt(2)
	v_mul_f32_e32 v35, v47, v57
	v_mul_f32_e32 v51, v46, v57
	v_fma_f32 v50, v46, v56, -v35
	v_fmac_f32_e32 v51, v47, v56
	s_waitcnt vmcnt(10)
	v_mul_f32_e32 v35, v49, v59
	v_mul_f32_e32 v47, v48, v59
	v_fma_f32 v46, v48, v58, -v35
	v_fmac_f32_e32 v47, v49, v58
	ds_write2_b64 v66, v[50:51], v[46:47] offset0:192 offset1:240
	s_waitcnt vmcnt(9) lgkmcnt(1)
	v_mul_f32_e32 v35, v39, v61
	v_mul_f32_e32 v51, v38, v61
	ds_read2_b64 v[46:49], v5 offset0:128 offset1:176
	v_fma_f32 v50, v38, v60, -v35
	v_fmac_f32_e32 v51, v39, v60
	s_waitcnt vmcnt(8)
	v_mul_f32_e32 v35, v41, v63
	v_mul_f32_e32 v39, v40, v63
	v_fma_f32 v38, v40, v62, -v35
	v_fmac_f32_e32 v39, v41, v62
	ds_write2_b64 v5, v[50:51], v[38:39] offset0:32 offset1:80
	ds_read2_b64 v[38:41], v34 offset0:96 offset1:144
	s_waitcnt vmcnt(7) lgkmcnt(2)
	v_mul_f32_e32 v35, v47, v65
	v_mul_f32_e32 v51, v46, v65
	v_fma_f32 v50, v46, v64, -v35
	v_fmac_f32_e32 v51, v47, v64
	s_waitcnt vmcnt(6)
	v_mul_f32_e32 v35, v49, v115
	v_mul_f32_e32 v47, v48, v115
	v_fma_f32 v46, v48, v114, -v35
	v_fmac_f32_e32 v47, v49, v114
	ds_write2_b64 v5, v[50:51], v[46:47] offset0:128 offset1:176
	s_waitcnt vmcnt(5) lgkmcnt(1)
	v_mul_f32_e32 v35, v39, v117
	v_mul_f32_e32 v51, v38, v117
	ds_read2_b64 v[46:49], v36 offset0:64 offset1:112
	v_fma_f32 v50, v38, v116, -v35
	v_fmac_f32_e32 v51, v39, v116
	s_waitcnt vmcnt(4)
	v_mul_f32_e32 v35, v41, v121
	v_mul_f32_e32 v39, v40, v121
	v_fma_f32 v38, v40, v120, -v35
	v_fmac_f32_e32 v39, v41, v120
	ds_write2_b64 v34, v[50:51], v[38:39] offset0:96 offset1:144
	ds_read2_b64 v[38:41], v36 offset0:160 offset1:208
	s_waitcnt vmcnt(1) lgkmcnt(2)
	v_mul_f32_e32 v35, v47, v127
	v_mul_f32_e32 v51, v46, v127
	v_fma_f32 v50, v46, v126, -v35
	v_fmac_f32_e32 v51, v47, v126
	v_mul_f32_e32 v35, v49, v123
	v_mul_f32_e32 v47, v48, v123
	v_fma_f32 v46, v48, v122, -v35
	v_fmac_f32_e32 v47, v49, v122
	ds_write2_b64 v36, v[50:51], v[46:47] offset0:64 offset1:112
	s_waitcnt lgkmcnt(1)
	v_mul_f32_e32 v35, v39, v125
	v_mul_f32_e32 v47, v38, v125
	v_fma_f32 v46, v38, v124, -v35
	v_fmac_f32_e32 v47, v39, v124
	s_waitcnt vmcnt(0)
	v_mul_f32_e32 v35, v41, v119
	v_mul_f32_e32 v39, v40, v119
	v_fma_f32 v38, v40, v118, -v35
	v_fmac_f32_e32 v39, v41, v118
	ds_write2_b64 v36, v[46:47], v[38:39] offset0:160 offset1:208
	s_waitcnt lgkmcnt(0)
	; wave barrier
	s_waitcnt lgkmcnt(0)
	ds_read2_b64 v[38:41], v34 offset0:96 offset1:144
	ds_read2_b64 v[46:49], v36 offset0:160 offset1:208
	ds_read2_b64 v[50:53], v66 offset1:48
	ds_read2_b64 v[54:57], v66 offset0:192 offset1:240
	ds_read2_b64 v[58:61], v5 offset0:128 offset1:176
	;; [unrolled: 1-line block ×5, first 2 shown]
	s_waitcnt lgkmcnt(0)
	v_pk_add_f32 v[60:61], v[52:53], v[60:61] neg_lo:[0,1] neg_hi:[0,1]
	v_pk_add_f32 v[34:35], v[54:55], v[62:63] neg_lo:[0,1] neg_hi:[0,1]
	;; [unrolled: 1-line block ×5, first 2 shown]
	v_pk_add_f32 v[124:125], v[62:63], v[38:39] op_sel:[0,1] op_sel_hi:[1,0]
	v_pk_add_f32 v[126:127], v[62:63], v[38:39] op_sel:[0,1] op_sel_hi:[1,0] neg_lo:[0,1] neg_hi:[0,1]
	v_pk_add_f32 v[58:59], v[50:51], v[58:59] neg_lo:[0,1] neg_hi:[0,1]
	v_mov_b32_e32 v125, v127
	v_pk_add_f32 v[126:127], v[60:61], v[46:47] op_sel:[0,1] op_sel_hi:[1,0]
	v_pk_add_f32 v[128:129], v[60:61], v[46:47] op_sel:[0,1] op_sel_hi:[1,0] neg_lo:[0,1] neg_hi:[0,1]
	v_pk_fma_f32 v[52:53], v[52:53], 2.0, v[60:61] op_sel_hi:[1,0,1] neg_lo:[0,0,1] neg_hi:[0,0,1]
	v_pk_fma_f32 v[46:47], v[56:57], 2.0, v[46:47] op_sel_hi:[1,0,1] neg_lo:[0,0,1] neg_hi:[0,0,1]
	v_pk_add_f32 v[40:41], v[116:117], v[40:41] neg_lo:[0,1] neg_hi:[0,1]
	v_pk_add_f32 v[48:49], v[120:121], v[48:49] neg_lo:[0,1] neg_hi:[0,1]
	v_pk_add_f32 v[64:65], v[58:59], v[34:35] op_sel:[0,1] op_sel_hi:[1,0]
	v_pk_add_f32 v[122:123], v[58:59], v[34:35] op_sel:[0,1] op_sel_hi:[1,0] neg_lo:[0,1] neg_hi:[0,1]
	v_pk_fma_f32 v[50:51], v[50:51], 2.0, v[58:59] op_sel_hi:[1,0,1] neg_lo:[0,0,1] neg_hi:[0,0,1]
	v_pk_fma_f32 v[34:35], v[54:55], 2.0, v[34:35] op_sel_hi:[1,0,1] neg_lo:[0,0,1] neg_hi:[0,0,1]
	;; [unrolled: 1-line block ×6, first 2 shown]
	v_pk_add_f32 v[120:121], v[52:53], v[46:47] neg_lo:[0,1] neg_hi:[0,1]
	v_pk_add_f32 v[116:117], v[50:51], v[34:35] neg_lo:[0,1] neg_hi:[0,1]
	;; [unrolled: 1-line block ×3, first 2 shown]
	v_pk_fma_f32 v[46:47], v[52:53], 2.0, v[120:121] op_sel_hi:[1,0,1] neg_lo:[0,0,1] neg_hi:[0,0,1]
	v_pk_add_f32 v[52:53], v[56:57], v[114:115] neg_lo:[0,1] neg_hi:[0,1]
	v_pk_fma_f32 v[34:35], v[50:51], 2.0, v[116:117] op_sel_hi:[1,0,1] neg_lo:[0,0,1] neg_hi:[0,0,1]
	v_pk_fma_f32 v[38:39], v[54:55], 2.0, v[118:119] op_sel_hi:[1,0,1] neg_lo:[0,0,1] neg_hi:[0,0,1]
	;; [unrolled: 1-line block ×3, first 2 shown]
	v_pk_add_f32 v[56:57], v[40:41], v[48:49] op_sel:[0,1] op_sel_hi:[1,0]
	v_pk_add_f32 v[48:49], v[40:41], v[48:49] op_sel:[0,1] op_sel_hi:[1,0] neg_lo:[0,1] neg_hi:[0,1]
	v_mov_b32_e32 v65, v123
	v_mov_b32_e32 v127, v129
	;; [unrolled: 1-line block ×3, first 2 shown]
	v_pk_add_f32 v[114:115], v[34:35], v[38:39] neg_lo:[0,1] neg_hi:[0,1]
	v_pk_add_f32 v[48:49], v[46:47], v[50:51] neg_lo:[0,1] neg_hi:[0,1]
	v_pk_mul_f32 v[130:131], v[124:125], s[8:9] op_sel_hi:[1,0]
	v_pk_fma_f32 v[132:133], v[124:125], s[8:9], v[64:65] op_sel_hi:[1,0,1]
	v_pk_fma_f32 v[34:35], v[34:35], 2.0, v[114:115] op_sel_hi:[1,0,1] neg_lo:[0,0,1] neg_hi:[0,0,1]
	v_pk_fma_f32 v[38:39], v[46:47], 2.0, v[48:49] op_sel_hi:[1,0,1] neg_lo:[0,0,1] neg_hi:[0,0,1]
	v_pk_mul_f32 v[46:47], v[56:57], s[8:9] op_sel_hi:[1,0]
	v_pk_fma_f32 v[50:51], v[56:57], s[8:9], v[126:127] op_sel_hi:[1,0,1]
	v_pk_add_f32 v[134:135], v[132:133], v[130:131] op_sel:[0,1] op_sel_hi:[1,0]
	v_pk_add_f32 v[130:131], v[132:133], v[130:131] op_sel:[0,1] op_sel_hi:[1,0] neg_lo:[0,1] neg_hi:[0,1]
	v_pk_add_f32 v[132:133], v[50:51], v[46:47] op_sel:[0,1] op_sel_hi:[1,0]
	v_pk_add_f32 v[46:47], v[50:51], v[46:47] op_sel:[0,1] op_sel_hi:[1,0] neg_lo:[0,1] neg_hi:[0,1]
	v_pk_add_f32 v[38:39], v[34:35], v[38:39] neg_lo:[0,1] neg_hi:[0,1]
	v_mov_b32_e32 v135, v131
	v_fma_f32 v37, v64, 2.0, -v134
	v_fma_f32 v122, v123, 2.0, -v131
	v_mov_b32_e32 v133, v47
	v_fma_f32 v42, v126, 2.0, -v132
	v_fma_f32 v44, v129, 2.0, -v47
	v_pk_fma_f32 v[46:47], v[34:35], 2.0, v[38:39] op_sel_hi:[1,0,1] neg_lo:[0,0,1] neg_hi:[0,0,1]
	v_mov_b32_e32 v123, v114
	v_mov_b32_e32 v34, v115
	v_fmamk_f32 v50, v42, 0xbec3ef15, v37
	v_pk_add_f32 v[136:137], v[122:123], v[48:49]
	v_pk_add_f32 v[138:139], v[34:35], v[48:49] neg_lo:[0,1] neg_hi:[0,1]
	v_pk_fma_f32 v[48:49], v[132:133], s[14:15], v[134:135] op_sel_hi:[1,0,1]
	v_pk_mul_f32 v[132:133], v[132:133], s[10:11] op_sel_hi:[1,0]
	v_fmac_f32_e32 v50, 0x3f6c835e, v44
	v_pk_add_f32 v[34:35], v[48:49], v[132:133] op_sel:[0,1] op_sel_hi:[1,0]
	v_pk_add_f32 v[48:49], v[48:49], v[132:133] op_sel:[0,1] op_sel_hi:[1,0] neg_lo:[0,1] neg_hi:[0,1]
	v_fma_f32 v54, v37, 2.0, -v50
	v_mov_b32_e32 v35, v49
	v_fma_f32 v37, v131, 2.0, -v49
	v_pk_fma_f32 v[48:49], v[58:59], 2.0, v[64:65] op_sel_hi:[1,0,1] neg_lo:[0,0,1] neg_hi:[0,0,1]
	v_pk_fma_f32 v[58:59], v[62:63], 2.0, v[124:125] op_sel_hi:[1,0,1] neg_lo:[0,0,1] neg_hi:[0,0,1]
	;; [unrolled: 1-line block ×4, first 2 shown]
	v_pk_mul_f32 v[62:63], v[58:59], s[8:9] op_sel_hi:[1,0]
	v_pk_fma_f32 v[58:59], v[58:59], s[8:9], v[48:49] op_sel_hi:[1,0,1] neg_lo:[1,0,0] neg_hi:[1,0,0]
	v_pk_mul_f32 v[56:57], v[40:41], s[8:9] op_sel_hi:[1,0]
	v_pk_fma_f32 v[40:41], v[40:41], s[8:9], v[60:61] op_sel_hi:[1,0,1] neg_lo:[1,0,0] neg_hi:[1,0,0]
	v_pk_add_f32 v[64:65], v[58:59], v[62:63] op_sel:[0,1] op_sel_hi:[1,0]
	v_pk_add_f32 v[58:59], v[58:59], v[62:63] op_sel:[0,1] op_sel_hi:[1,0] neg_lo:[0,1] neg_hi:[0,1]
	v_pk_add_f32 v[62:63], v[40:41], v[56:57] op_sel:[0,1] op_sel_hi:[1,0]
	v_pk_add_f32 v[56:57], v[40:41], v[56:57] op_sel:[0,1] op_sel_hi:[1,0] neg_lo:[0,1] neg_hi:[0,1]
	v_mov_b32_e32 v65, v59
	v_mov_b32_e32 v63, v57
	v_pk_fma_f32 v[48:49], v[48:49], 2.0, v[64:65] op_sel_hi:[1,0,1] neg_lo:[0,0,1] neg_hi:[0,0,1]
	v_pk_fma_f32 v[40:41], v[60:61], 2.0, v[62:63] op_sel_hi:[1,0,1] neg_lo:[0,0,1] neg_hi:[0,0,1]
	; wave barrier
	s_nop 0
	v_pk_fma_f32 v[60:61], v[40:41], s[14:15], v[48:49] op_sel_hi:[1,0,1] neg_lo:[1,0,0] neg_hi:[1,0,0]
	v_pk_mul_f32 v[124:125], v[40:41], s[10:11] op_sel_hi:[1,0]
	v_pk_add_f32 v[126:127], v[120:121], v[52:53] op_sel:[0,1] op_sel_hi:[1,0] neg_lo:[0,1] neg_hi:[0,1]
	v_pk_add_f32 v[40:41], v[60:61], v[124:125] op_sel:[0,1] op_sel_hi:[1,0]
	v_pk_add_f32 v[60:61], v[60:61], v[124:125] op_sel:[0,1] op_sel_hi:[1,0] neg_lo:[0,1] neg_hi:[0,1]
	v_pk_add_f32 v[124:125], v[120:121], v[52:53] op_sel:[0,1] op_sel_hi:[1,0]
	v_mov_b32_e32 v41, v61
	v_pk_fma_f32 v[48:49], v[48:49], 2.0, v[40:41] op_sel_hi:[1,0,1] neg_lo:[0,0,1] neg_hi:[0,0,1]
	ds_write_b128 v45, v[46:49]
	v_pk_add_f32 v[46:47], v[116:117], v[118:119] op_sel:[0,1] op_sel_hi:[1,0]
	v_pk_add_f32 v[118:119], v[116:117], v[118:119] op_sel:[0,1] op_sel_hi:[1,0] neg_lo:[0,1] neg_hi:[0,1]
	v_mov_b32_e32 v125, v127
	v_mov_b32_e32 v47, v119
	v_pk_fma_f32 v[116:117], v[116:117], 2.0, v[46:47] op_sel_hi:[1,0,1] neg_lo:[0,0,1] neg_hi:[0,0,1]
	v_pk_fma_f32 v[48:49], v[120:121], 2.0, v[124:125] op_sel_hi:[1,0,1] neg_lo:[0,0,1] neg_hi:[0,0,1]
	v_fmamk_f32 v128, v44, 0xbec3ef15, v122
	v_pk_mul_f32 v[52:53], v[48:49], s[8:9] op_sel_hi:[1,0]
	v_pk_fma_f32 v[120:121], v[48:49], s[8:9], v[116:117] op_sel_hi:[1,0,1] neg_lo:[1,0,0] neg_hi:[1,0,0]
	v_fmac_f32_e32 v128, 0xbf6c835e, v42
	v_pk_add_f32 v[48:49], v[120:121], v[52:53] op_sel:[0,1] op_sel_hi:[1,0]
	v_pk_add_f32 v[120:121], v[120:121], v[52:53] op_sel:[0,1] op_sel_hi:[1,0] neg_lo:[0,1] neg_hi:[0,1]
	v_mov_b32_e32 v129, v137
	v_mov_b32_e32 v49, v121
	v_pk_fma_f32 v[52:53], v[116:117], 2.0, v[48:49] op_sel_hi:[1,0,1] neg_lo:[0,0,1] neg_hi:[0,0,1]
	v_fmamk_f32 v139, v62, 0x3ec3ef15, v64
	ds_write_b96 v45, v[52:54] offset:16
	v_pk_fma_f32 v[52:53], v[122:123], 2.0, v[128:129] op_sel_hi:[1,0,1] neg_lo:[0,0,1] neg_hi:[0,0,1]
	v_fmac_f32_e32 v139, 0x3f6c835e, v57
	ds_write2_b32 v45, v52, v53 offset0:7 offset1:8
	v_mov_b32_e32 v52, v115
	v_mov_b32_e32 v53, v64
	v_pk_fma_f32 v[52:53], v[52:53], 2.0, v[138:139] op_sel_hi:[1,0,1] neg_lo:[0,0,1] neg_hi:[0,0,1]
	ds_write2_b32 v43, v52, v53 offset0:8 offset1:9
	v_mov_b32_e32 v52, v57
	v_mov_b32_e32 v53, v124
	s_mov_b32 s11, s8
	v_mov_b32_e32 v54, v59
	v_mov_b32_e32 v55, v46
	v_mov_b32_e32 v63, v127
	s_mov_b32 s15, s8
	v_pk_fma_f32 v[56:57], v[52:53], s[10:11], v[54:55]
	v_pk_fma_f32 v[46:47], v[62:63], s[14:15], v[46:47]
	v_pk_fma_f32 v[58:59], v[62:63], s[14:15], v[56:57] neg_lo:[1,0,0] neg_hi:[1,0,0]
	v_pk_fma_f32 v[56:57], v[62:63], s[14:15], v[56:57]
	v_pk_fma_f32 v[46:47], v[52:53], s[10:11], v[46:47] neg_lo:[1,0,0] neg_hi:[1,0,0]
	v_mov_b32_e32 v59, v57
	v_pk_fma_f32 v[52:53], v[54:55], 2.0, v[58:59] op_sel_hi:[1,0,1] neg_lo:[0,0,1] neg_hi:[0,0,1]
	ds_write2_b32 v43, v52, v53 offset0:10 offset1:11
	v_mov_b32_e32 v52, v119
	v_mov_b32_e32 v53, v134
	;; [unrolled: 1-line block ×4, first 2 shown]
	v_pk_fma_f32 v[52:53], v[52:53], 2.0, v[54:55] op_sel_hi:[1,0,1] neg_lo:[0,0,1] neg_hi:[0,0,1]
	ds_write2_b32 v43, v52, v53 offset0:12 offset1:13
	ds_write_b128 v45, v[38:41] offset:64
	ds_write_b96 v45, v[48:50] offset:80
	ds_write2_b32 v45, v128, v137 offset0:23 offset1:24
	ds_write2_b32 v43, v138, v139 offset0:24 offset1:25
	;; [unrolled: 1-line block ×4, first 2 shown]
	ds_write_b64 v45, v[34:35] offset:120
	s_waitcnt lgkmcnt(0)
	; wave barrier
	s_waitcnt lgkmcnt(0)
	ds_read2_b64 v[58:61], v66 offset1:48
	ds_read2_b64 v[62:65], v36 offset1:48
	ds_read2_b64 v[54:57], v5 offset0:48 offset1:96
	ds_read2_b64 v[46:49], v66 offset0:96 offset1:144
	ds_read2_b64 v[50:53], v36 offset0:96 offset1:144
	ds_read2_b64 v[42:45], v5 offset0:144 offset1:192
	ds_read2st64_b64 v[38:41], v66 offset0:3 offset1:4
	ds_read_b64 v[142:143], v66 offset:5632
	s_and_saveexec_b64 s[2:3], s[0:1]
	s_xor_b64 s[0:1], exec, s[2:3]
	s_or_saveexec_b64 s[0:1], s[0:1]
	v_mov_b32_e32 v5, v4
	v_mov_b32_e32 v144, v104
	;; [unrolled: 1-line block ×5, first 2 shown]
	s_xor_b64 exec, exec, s[0:1]
	s_cbranch_execz .LBB0_7
; %bb.6:
	v_add_u32_e32 v34, 0x180, v66
	ds_read_b64 v[106:107], v66 offset:6016
	ds_read2st64_b64 v[34:37], v34 offset0:3 offset1:7
	s_waitcnt lgkmcnt(1)
	v_mov_b32_e32 v109, v107
	s_waitcnt lgkmcnt(0)
	v_mov_b32_e32 v108, v36
	v_mov_b32_e32 v107, v37
.LBB0_7:
	s_or_b64 exec, exec, s[0:1]
	s_waitcnt lgkmcnt(1)
	v_pk_mul_f32 v[152:153], v[144:145], v[40:41]
	v_pk_mul_f32 v[154:155], v[112:113], v[62:63]
	v_pk_fma_f32 v[168:169], v[4:5], v[40:41], v[152:153] op_sel:[0,0,1] op_sel_hi:[1,1,0]
	v_pk_fma_f32 v[40:41], v[4:5], v[40:41], v[152:153] op_sel:[0,0,1] op_sel_hi:[1,1,0] neg_lo:[0,0,1] neg_hi:[0,0,1]
	s_mov_b32 s0, 0x3f5db3d7
	v_mov_b32_e32 v169, v41
	v_pk_fma_f32 v[40:41], v[104:105], v[62:63], v[154:155] op_sel:[0,0,1] op_sel_hi:[1,1,0]
	v_pk_fma_f32 v[62:63], v[104:105], v[62:63], v[154:155] op_sel:[0,0,1] op_sel_hi:[1,1,0] neg_lo:[0,0,1] neg_hi:[0,0,1]
	v_pk_mul_f32 v[156:157], v[144:145], v[54:55]
	v_mov_b32_e32 v41, v63
	v_pk_add_f32 v[62:63], v[58:59], v[168:169]
	v_pk_add_f32 v[152:153], v[168:169], v[40:41]
	;; [unrolled: 1-line block ×3, first 2 shown]
	v_pk_add_f32 v[40:41], v[168:169], v[40:41] neg_lo:[0,1] neg_hi:[0,1]
	v_pk_fma_f32 v[58:59], v[152:153], 0.5, v[58:59] op_sel_hi:[1,0,1] neg_lo:[1,0,0] neg_hi:[1,0,0]
	v_pk_mul_f32 v[40:41], v[40:41], s[0:1] op_sel_hi:[1,0]
	v_pk_mul_f32 v[158:159], v[112:113], v[64:65]
	v_pk_add_f32 v[152:153], v[58:59], v[40:41] op_sel:[0,1] op_sel_hi:[1,0] neg_lo:[0,1] neg_hi:[0,1]
	v_pk_add_f32 v[40:41], v[58:59], v[40:41] op_sel:[0,1] op_sel_hi:[1,0]
	s_waitcnt lgkmcnt(0)
	v_mov_b32_e32 v59, v41
	v_mov_b32_e32 v41, v153
	; wave barrier
	v_mov_b32_e32 v58, v152
	ds_write_b64 v148, v[40:41] offset:256
	v_pk_fma_f32 v[40:41], v[4:5], v[54:55], v[156:157] op_sel:[0,0,1] op_sel_hi:[1,1,0]
	v_pk_fma_f32 v[54:55], v[4:5], v[54:55], v[156:157] op_sel:[0,0,1] op_sel_hi:[1,1,0] neg_lo:[0,0,1] neg_hi:[0,0,1]
	ds_write2_b64 v148, v[62:63], v[58:59] offset1:16
	v_mov_b32_e32 v41, v55
	v_pk_fma_f32 v[54:55], v[104:105], v[64:65], v[158:159] op_sel:[0,0,1] op_sel_hi:[1,1,0]
	v_pk_fma_f32 v[58:59], v[104:105], v[64:65], v[158:159] op_sel:[0,0,1] op_sel_hi:[1,1,0] neg_lo:[0,0,1] neg_hi:[0,0,1]
	v_pk_mul_f32 v[160:161], v[144:145], v[56:57]
	v_mov_b32_e32 v55, v59
	v_pk_add_f32 v[58:59], v[60:61], v[40:41]
	v_pk_add_f32 v[62:63], v[40:41], v[54:55]
	v_pk_add_f32 v[40:41], v[40:41], v[54:55] neg_lo:[0,1] neg_hi:[0,1]
	v_pk_fma_f32 v[60:61], v[62:63], 0.5, v[60:61] op_sel_hi:[1,0,1] neg_lo:[1,0,0] neg_hi:[1,0,0]
	v_pk_mul_f32 v[40:41], v[40:41], s[0:1] op_sel_hi:[1,0]
	v_pk_add_f32 v[58:59], v[58:59], v[54:55]
	v_pk_add_f32 v[54:55], v[60:61], v[40:41] op_sel:[0,1] op_sel_hi:[1,0] neg_lo:[0,1] neg_hi:[0,1]
	v_pk_add_f32 v[40:41], v[60:61], v[40:41] op_sel:[0,1] op_sel_hi:[1,0]
	v_pk_mul_f32 v[162:163], v[112:113], v[50:51]
	v_mov_b32_e32 v61, v41
	v_mov_b32_e32 v41, v55
	v_mov_b32_e32 v60, v54
	ds_write_b64 v147, v[40:41] offset:256
	v_pk_fma_f32 v[40:41], v[4:5], v[56:57], v[160:161] op_sel:[0,0,1] op_sel_hi:[1,1,0]
	v_pk_fma_f32 v[54:55], v[4:5], v[56:57], v[160:161] op_sel:[0,0,1] op_sel_hi:[1,1,0] neg_lo:[0,0,1] neg_hi:[0,0,1]
	v_pk_mul_f32 v[164:165], v[144:145], v[42:43]
	v_mov_b32_e32 v41, v55
	v_pk_fma_f32 v[54:55], v[104:105], v[50:51], v[162:163] op_sel:[0,0,1] op_sel_hi:[1,1,0]
	v_pk_fma_f32 v[50:51], v[104:105], v[50:51], v[162:163] op_sel:[0,0,1] op_sel_hi:[1,1,0] neg_lo:[0,0,1] neg_hi:[0,0,1]
	v_pk_mul_f32 v[166:167], v[112:113], v[52:53]
	v_mov_b32_e32 v55, v51
	v_pk_add_f32 v[50:51], v[46:47], v[40:41]
	v_pk_add_f32 v[56:57], v[40:41], v[54:55]
	v_pk_add_f32 v[40:41], v[40:41], v[54:55] neg_lo:[0,1] neg_hi:[0,1]
	v_pk_fma_f32 v[46:47], v[56:57], 0.5, v[46:47] op_sel_hi:[1,0,1] neg_lo:[1,0,0] neg_hi:[1,0,0]
	v_pk_mul_f32 v[40:41], v[40:41], s[0:1] op_sel_hi:[1,0]
	v_pk_add_f32 v[50:51], v[50:51], v[54:55]
	v_pk_add_f32 v[54:55], v[46:47], v[40:41] op_sel:[0,1] op_sel_hi:[1,0] neg_lo:[0,1] neg_hi:[0,1]
	v_pk_add_f32 v[40:41], v[46:47], v[40:41] op_sel:[0,1] op_sel_hi:[1,0]
	ds_write2_b64 v147, v[58:59], v[60:61] offset1:16
	v_mov_b32_e32 v47, v41
	v_mov_b32_e32 v41, v55
	;; [unrolled: 1-line block ×3, first 2 shown]
	ds_write_b64 v146, v[40:41] offset:256
	v_pk_fma_f32 v[40:41], v[4:5], v[42:43], v[164:165] op_sel:[0,0,1] op_sel_hi:[1,1,0]
	v_pk_fma_f32 v[42:43], v[4:5], v[42:43], v[164:165] op_sel:[0,0,1] op_sel_hi:[1,1,0] neg_lo:[0,0,1] neg_hi:[0,0,1]
	ds_write2_b64 v146, v[50:51], v[46:47] offset1:16
	v_mov_b32_e32 v41, v43
	v_pk_fma_f32 v[42:43], v[104:105], v[52:53], v[166:167] op_sel:[0,0,1] op_sel_hi:[1,1,0]
	v_pk_fma_f32 v[46:47], v[104:105], v[52:53], v[166:167] op_sel:[0,0,1] op_sel_hi:[1,1,0] neg_lo:[0,0,1] neg_hi:[0,0,1]
	v_pk_mul_f32 v[144:145], v[144:145], v[44:45]
	v_mov_b32_e32 v43, v47
	v_pk_add_f32 v[46:47], v[48:49], v[40:41]
	v_pk_add_f32 v[50:51], v[40:41], v[42:43]
	v_pk_add_f32 v[40:41], v[40:41], v[42:43] neg_lo:[0,1] neg_hi:[0,1]
	v_pk_fma_f32 v[48:49], v[50:51], 0.5, v[48:49] op_sel_hi:[1,0,1] neg_lo:[1,0,0] neg_hi:[1,0,0]
	v_pk_mul_f32 v[40:41], v[40:41], s[0:1] op_sel_hi:[1,0]
	v_pk_add_f32 v[46:47], v[46:47], v[42:43]
	v_pk_add_f32 v[42:43], v[48:49], v[40:41] op_sel:[0,1] op_sel_hi:[1,0] neg_lo:[0,1] neg_hi:[0,1]
	v_pk_add_f32 v[40:41], v[48:49], v[40:41] op_sel:[0,1] op_sel_hi:[1,0]
	v_pk_mul_f32 v[112:113], v[112:113], v[142:143]
	v_mov_b32_e32 v49, v41
	v_mov_b32_e32 v41, v43
	ds_write_b64 v149, v[40:41] offset:256
	v_pk_fma_f32 v[40:41], v[4:5], v[44:45], v[144:145] op_sel:[0,0,1] op_sel_hi:[1,1,0]
	v_pk_fma_f32 v[4:5], v[4:5], v[44:45], v[144:145] op_sel:[0,0,1] op_sel_hi:[1,1,0] neg_lo:[0,0,1] neg_hi:[0,0,1]
	v_mov_b32_e32 v48, v42
	v_mov_b32_e32 v41, v5
	v_pk_fma_f32 v[4:5], v[104:105], v[142:143], v[112:113] op_sel:[0,0,1] op_sel_hi:[1,1,0]
	v_pk_fma_f32 v[42:43], v[104:105], v[142:143], v[112:113] op_sel:[0,0,1] op_sel_hi:[1,1,0] neg_lo:[0,0,1] neg_hi:[0,0,1]
	v_mov_b32_e32 v140, v30
	v_mov_b32_e32 v5, v43
	v_pk_add_f32 v[42:43], v[38:39], v[40:41]
	v_pk_add_f32 v[44:45], v[40:41], v[4:5]
	;; [unrolled: 1-line block ×3, first 2 shown]
	v_pk_add_f32 v[4:5], v[40:41], v[4:5] neg_lo:[0,1] neg_hi:[0,1]
	v_pk_fma_f32 v[38:39], v[44:45], 0.5, v[38:39] op_sel_hi:[1,0,1] neg_lo:[1,0,0] neg_hi:[1,0,0]
	v_pk_mul_f32 v[4:5], v[4:5], s[0:1] op_sel_hi:[1,0]
	v_mov_b32_e32 v141, v30
	v_pk_add_f32 v[40:41], v[38:39], v[4:5] op_sel:[0,1] op_sel_hi:[1,0] neg_lo:[0,1] neg_hi:[0,1]
	v_pk_add_f32 v[4:5], v[38:39], v[4:5] op_sel:[0,1] op_sel_hi:[1,0]
	v_mov_b32_e32 v30, v31
	v_mov_b32_e32 v138, v32
	;; [unrolled: 1-line block ×46, first 2 shown]
	ds_write2_b64 v149, v[46:47], v[48:49] offset1:16
	ds_write2_b64 v150, v[42:43], v[38:39] offset1:16
	ds_write_b64 v150, v[4:5] offset:256
	s_and_saveexec_b64 s[2:3], vcc
	s_cbranch_execz .LBB0_9
; %bb.8:
	v_pk_mul_f32 v[4:5], v[0:1], v[106:107] op_sel:[0,1]
	v_pk_mul_f32 v[38:39], v[2:3], v[108:109] op_sel:[0,1]
	v_pk_fma_f32 v[40:41], v[0:1], v[108:109], v[4:5] op_sel:[0,0,1] op_sel_hi:[1,1,0]
	v_pk_fma_f32 v[0:1], v[0:1], v[108:109], v[4:5] op_sel:[0,0,1] op_sel_hi:[1,0,0] neg_lo:[1,0,0] neg_hi:[1,0,0]
	s_nop 0
	v_mov_b32_e32 v41, v1
	v_pk_fma_f32 v[0:1], v[2:3], v[106:107], v[38:39] op_sel:[0,0,1] op_sel_hi:[1,1,0]
	v_pk_fma_f32 v[2:3], v[2:3], v[106:107], v[38:39] op_sel:[0,0,1] op_sel_hi:[1,0,0] neg_lo:[1,0,0] neg_hi:[1,0,0]
	s_nop 0
	v_mov_b32_e32 v1, v3
	v_pk_add_f32 v[2:3], v[40:41], v[0:1]
	v_pk_add_f32 v[4:5], v[40:41], v[0:1] neg_lo:[0,1] neg_hi:[0,1]
	v_pk_fma_f32 v[2:3], -0.5, v[2:3], v[34:35] op_sel_hi:[0,1,1]
	v_pk_mul_f32 v[4:5], v[4:5], s[0:1] op_sel_hi:[1,0]
	s_nop 0
	v_pk_add_f32 v[38:39], v[2:3], v[4:5] op_sel:[0,1] op_sel_hi:[1,0]
	v_pk_add_f32 v[2:3], v[2:3], v[4:5] op_sel:[0,1] op_sel_hi:[1,0] neg_lo:[0,1] neg_hi:[0,1]
	v_pk_add_f32 v[4:5], v[34:35], v[40:41]
	s_nop 0
	v_pk_add_f32 v[0:1], v[4:5], v[0:1]
	v_mov_b32_e32 v4, v2
	v_mov_b32_e32 v5, v39
	v_add_u32_e32 v2, 0x1000, v66
	v_mov_b32_e32 v39, v3
	ds_write2_b64 v2, v[0:1], v[4:5] offset0:208 offset1:224
	ds_write_b64 v66, v[38:39] offset:6016
.LBB0_9:
	s_or_b64 exec, exec, s[2:3]
	s_waitcnt lgkmcnt(0)
	; wave barrier
	s_waitcnt lgkmcnt(0)
	ds_read2_b64 v[38:41], v66 offset1:48
	ds_read2_b64 v[42:45], v66 offset0:96 offset1:144
	ds_read2_b64 v[46:49], v66 offset0:192 offset1:240
	v_add_u32_e32 v5, 0x800, v66
	ds_read2_b64 v[50:53], v5 offset0:32 offset1:80
	ds_read2_b64 v[54:57], v5 offset0:128 offset1:176
	s_waitcnt lgkmcnt(4)
	v_pk_mul_f32 v[30:31], v[30:31], v[40:41]
	s_waitcnt lgkmcnt(3)
	v_pk_mul_f32 v[26:27], v[26:27], v[44:45]
	v_pk_fma_f32 v[34:35], v[140:141], v[40:41], v[30:31] op_sel:[0,0,1] op_sel_hi:[1,1,0]
	v_pk_fma_f32 v[30:31], v[140:141], v[40:41], v[30:31] op_sel:[0,0,1] op_sel_hi:[1,1,0] neg_lo:[0,0,1] neg_hi:[0,0,1]
	s_waitcnt lgkmcnt(2)
	v_pk_mul_f32 v[22:23], v[22:23], v[48:49]
	v_mov_b32_e32 v35, v31
	v_pk_mul_f32 v[30:31], v[32:33], v[42:43]
	v_add_u32_e32 v108, 0xc00, v66
	v_pk_fma_f32 v[32:33], v[138:139], v[42:43], v[30:31] op_sel:[0,0,1] op_sel_hi:[1,1,0]
	v_pk_fma_f32 v[30:31], v[138:139], v[42:43], v[30:31] op_sel:[0,0,1] op_sel_hi:[1,1,0] neg_lo:[0,0,1] neg_hi:[0,0,1]
	s_waitcnt lgkmcnt(1)
	v_pk_mul_f32 v[14:15], v[14:15], v[52:53]
	v_mov_b32_e32 v33, v31
	v_pk_fma_f32 v[30:31], v[136:137], v[44:45], v[26:27] op_sel:[0,0,1] op_sel_hi:[1,1,0]
	v_pk_fma_f32 v[26:27], v[136:137], v[44:45], v[26:27] op_sel:[0,0,1] op_sel_hi:[1,1,0] neg_lo:[0,0,1] neg_hi:[0,0,1]
	ds_read2_b64 v[58:61], v108 offset0:96 offset1:144
	v_mov_b32_e32 v31, v27
	v_pk_mul_f32 v[26:27], v[28:29], v[46:47]
	v_add_u32_e32 v4, 0x1000, v66
	v_pk_fma_f32 v[28:29], v[134:135], v[46:47], v[26:27] op_sel:[0,0,1] op_sel_hi:[1,1,0]
	v_pk_fma_f32 v[26:27], v[134:135], v[46:47], v[26:27] op_sel:[0,0,1] op_sel_hi:[1,1,0] neg_lo:[0,0,1] neg_hi:[0,0,1]
	ds_read2_b64 v[62:65], v4 offset0:64 offset1:112
	ds_read2_b64 v[104:107], v4 offset0:160 offset1:208
	v_mov_b32_e32 v29, v27
	v_pk_fma_f32 v[26:27], v[132:133], v[48:49], v[22:23] op_sel:[0,0,1] op_sel_hi:[1,1,0]
	v_pk_fma_f32 v[22:23], v[132:133], v[48:49], v[22:23] op_sel:[0,0,1] op_sel_hi:[1,1,0] neg_lo:[0,0,1] neg_hi:[0,0,1]
	s_waitcnt lgkmcnt(2)
	v_pk_mul_f32 v[10:11], v[10:11], v[60:61]
	v_mov_b32_e32 v27, v23
	v_pk_mul_f32 v[22:23], v[24:25], v[50:51]
	s_waitcnt lgkmcnt(1)
	v_pk_mul_f32 v[6:7], v[6:7], v[64:65]
	v_pk_fma_f32 v[24:25], v[130:131], v[50:51], v[22:23] op_sel:[0,0,1] op_sel_hi:[1,1,0]
	v_pk_fma_f32 v[22:23], v[130:131], v[50:51], v[22:23] op_sel:[0,0,1] op_sel_hi:[1,1,0] neg_lo:[0,0,1] neg_hi:[0,0,1]
	v_mad_u64_u32 v[2:3], s[0:1], s6, v74, 0
	v_mov_b32_e32 v25, v23
	v_pk_fma_f32 v[22:23], v[128:129], v[52:53], v[14:15] op_sel:[0,0,1] op_sel_hi:[1,1,0]
	v_pk_fma_f32 v[14:15], v[128:129], v[52:53], v[14:15] op_sel:[0,0,1] op_sel_hi:[1,1,0] neg_lo:[0,0,1] neg_hi:[0,0,1]
	s_mov_b32 s0, 0x3f3504f3
	v_mov_b32_e32 v23, v15
	v_pk_mul_f32 v[14:15], v[16:17], v[54:55]
	s_mov_b32 s2, 0x3f6c835e
	v_pk_fma_f32 v[16:17], v[126:127], v[54:55], v[14:15] op_sel:[0,0,1] op_sel_hi:[1,1,0]
	v_pk_fma_f32 v[14:15], v[126:127], v[54:55], v[14:15] op_sel:[0,0,1] op_sel_hi:[1,1,0] neg_lo:[0,0,1] neg_hi:[0,0,1]
	s_mov_b32 s6, 0x3ec3ef15
	v_mov_b32_e32 v17, v15
	v_pk_mul_f32 v[14:15], v[18:19], v[56:57]
	v_mov_b32_e32 v0, s12
	v_pk_fma_f32 v[18:19], v[124:125], v[56:57], v[14:15] op_sel:[0,0,1] op_sel_hi:[1,1,0]
	v_pk_fma_f32 v[14:15], v[124:125], v[56:57], v[14:15] op_sel:[0,0,1] op_sel_hi:[1,1,0] neg_lo:[0,0,1] neg_hi:[0,0,1]
	v_mov_b32_e32 v1, s13
	v_mov_b32_e32 v19, v15
	v_pk_mul_f32 v[14:15], v[20:21], v[58:59]
	v_pk_add_f32 v[18:19], v[34:35], v[18:19] neg_lo:[0,1] neg_hi:[0,1]
	v_pk_fma_f32 v[20:21], v[122:123], v[58:59], v[14:15] op_sel:[0,0,1] op_sel_hi:[1,1,0]
	v_pk_fma_f32 v[14:15], v[122:123], v[58:59], v[14:15] op_sel:[0,0,1] op_sel_hi:[1,1,0] neg_lo:[0,0,1] neg_hi:[0,0,1]
	v_pk_fma_f32 v[34:35], v[34:35], 2.0, v[18:19] op_sel_hi:[1,0,1] neg_lo:[0,0,1] neg_hi:[0,0,1]
	v_mov_b32_e32 v21, v15
	v_pk_fma_f32 v[14:15], v[120:121], v[60:61], v[10:11] op_sel:[0,0,1] op_sel_hi:[1,1,0]
	v_pk_fma_f32 v[10:11], v[120:121], v[60:61], v[10:11] op_sel:[0,0,1] op_sel_hi:[1,1,0] neg_lo:[0,0,1] neg_hi:[0,0,1]
	v_pk_add_f32 v[20:21], v[32:33], v[20:21] neg_lo:[0,1] neg_hi:[0,1]
	v_mov_b32_e32 v15, v11
	v_pk_mul_f32 v[10:11], v[12:13], v[62:63]
	v_pk_fma_f32 v[32:33], v[32:33], 2.0, v[20:21] op_sel_hi:[1,0,1] neg_lo:[0,0,1] neg_hi:[0,0,1]
	v_pk_fma_f32 v[12:13], v[118:119], v[62:63], v[10:11] op_sel:[0,0,1] op_sel_hi:[1,1,0]
	v_pk_fma_f32 v[10:11], v[118:119], v[62:63], v[10:11] op_sel:[0,0,1] op_sel_hi:[1,1,0] neg_lo:[0,0,1] neg_hi:[0,0,1]
	v_pk_add_f32 v[14:15], v[30:31], v[14:15] neg_lo:[0,1] neg_hi:[0,1]
	v_mov_b32_e32 v13, v11
	v_pk_fma_f32 v[10:11], v[116:117], v[64:65], v[6:7] op_sel:[0,0,1] op_sel_hi:[1,1,0]
	v_pk_fma_f32 v[6:7], v[116:117], v[64:65], v[6:7] op_sel:[0,0,1] op_sel_hi:[1,1,0] neg_lo:[0,0,1] neg_hi:[0,0,1]
	v_pk_add_f32 v[12:13], v[28:29], v[12:13] neg_lo:[0,1] neg_hi:[0,1]
	v_mov_b32_e32 v11, v7
	s_waitcnt lgkmcnt(0)
	v_pk_mul_f32 v[6:7], v[8:9], v[104:105]
	v_pk_fma_f32 v[28:29], v[28:29], 2.0, v[12:13] op_sel_hi:[1,0,1] neg_lo:[0,0,1] neg_hi:[0,0,1]
	v_pk_fma_f32 v[8:9], v[114:115], v[104:105], v[6:7] op_sel:[0,0,1] op_sel_hi:[1,1,0]
	v_pk_fma_f32 v[6:7], v[114:115], v[104:105], v[6:7] op_sel:[0,0,1] op_sel_hi:[1,1,0] neg_lo:[0,0,1] neg_hi:[0,0,1]
	v_pk_add_f32 v[10:11], v[26:27], v[10:11] neg_lo:[0,1] neg_hi:[0,1]
	v_mov_b32_e32 v9, v7
	v_pk_mul_f32 v[6:7], v[110:111], v[106:107]
	v_pk_add_f32 v[8:9], v[24:25], v[8:9] neg_lo:[0,1] neg_hi:[0,1]
	v_pk_fma_f32 v[40:41], v[36:37], v[106:107], v[6:7] op_sel:[0,0,1] op_sel_hi:[1,1,0]
	v_pk_fma_f32 v[6:7], v[36:37], v[106:107], v[6:7] op_sel:[0,0,1] op_sel_hi:[1,1,0] neg_lo:[0,0,1] neg_hi:[0,0,1]
	v_pk_fma_f32 v[24:25], v[24:25], 2.0, v[8:9] op_sel_hi:[1,0,1] neg_lo:[0,0,1] neg_hi:[0,0,1]
	v_mov_b32_e32 v41, v7
	v_pk_add_f32 v[6:7], v[38:39], v[16:17] neg_lo:[0,1] neg_hi:[0,1]
	v_pk_fma_f32 v[26:27], v[26:27], 2.0, v[10:11] op_sel_hi:[1,0,1] neg_lo:[0,0,1] neg_hi:[0,0,1]
	v_pk_fma_f32 v[16:17], v[38:39], 2.0, v[6:7] op_sel_hi:[1,0,1] neg_lo:[0,0,1] neg_hi:[0,0,1]
	v_pk_add_f32 v[38:39], v[6:7], v[12:13] op_sel:[0,1] op_sel_hi:[1,0]
	v_pk_add_f32 v[12:13], v[6:7], v[12:13] op_sel:[0,1] op_sel_hi:[1,0] neg_lo:[0,1] neg_hi:[0,1]
	v_pk_add_f32 v[36:37], v[22:23], v[40:41] neg_lo:[0,1] neg_hi:[0,1]
	v_mov_b32_e32 v39, v13
	v_pk_add_f32 v[12:13], v[20:21], v[8:9] op_sel:[0,1] op_sel_hi:[1,0]
	v_pk_add_f32 v[8:9], v[20:21], v[8:9] op_sel:[0,1] op_sel_hi:[1,0] neg_lo:[0,1] neg_hi:[0,1]
	v_pk_fma_f32 v[22:23], v[22:23], 2.0, v[36:37] op_sel_hi:[1,0,1] neg_lo:[0,0,1] neg_hi:[0,0,1]
	v_mov_b32_e32 v13, v9
	v_pk_fma_f32 v[8:9], v[20:21], 2.0, v[12:13] op_sel_hi:[1,0,1] neg_lo:[0,0,1] neg_hi:[0,0,1]
	v_pk_add_f32 v[20:21], v[18:19], v[10:11] op_sel:[0,1] op_sel_hi:[1,0]
	v_pk_add_f32 v[10:11], v[18:19], v[10:11] op_sel:[0,1] op_sel_hi:[1,0] neg_lo:[0,1] neg_hi:[0,1]
	v_pk_fma_f32 v[6:7], v[6:7], 2.0, v[38:39] op_sel_hi:[1,0,1] neg_lo:[0,0,1] neg_hi:[0,0,1]
	v_mov_b32_e32 v21, v11
	v_pk_fma_f32 v[10:11], v[18:19], 2.0, v[20:21] op_sel_hi:[1,0,1] neg_lo:[0,0,1] neg_hi:[0,0,1]
	;; [unrolled: 5-line block ×3, first 2 shown]
	v_pk_mul_f32 v[36:37], v[8:9], s[0:1] op_sel_hi:[1,0]
	v_pk_fma_f32 v[8:9], v[8:9], s[0:1], v[6:7] op_sel_hi:[1,0,1] neg_lo:[1,0,0] neg_hi:[1,0,0]
	v_pk_add_f32 v[28:29], v[16:17], v[28:29] neg_lo:[0,1] neg_hi:[0,1]
	v_pk_add_f32 v[40:41], v[8:9], v[36:37] op_sel:[0,1] op_sel_hi:[1,0]
	v_pk_add_f32 v[8:9], v[8:9], v[36:37] op_sel:[0,1] op_sel_hi:[1,0] neg_lo:[0,1] neg_hi:[0,1]
	v_pk_mul_f32 v[36:37], v[14:15], s[0:1] op_sel_hi:[1,0]
	v_pk_fma_f32 v[14:15], v[14:15], s[0:1], v[10:11] op_sel_hi:[1,0,1] neg_lo:[1,0,0] neg_hi:[1,0,0]
	v_pk_add_f32 v[24:25], v[32:33], v[24:25] neg_lo:[0,1] neg_hi:[0,1]
	v_pk_add_f32 v[42:43], v[14:15], v[36:37] op_sel:[0,1] op_sel_hi:[1,0]
	v_pk_add_f32 v[14:15], v[14:15], v[36:37] op_sel:[0,1] op_sel_hi:[1,0] neg_lo:[0,1] neg_hi:[0,1]
	v_pk_add_f32 v[26:27], v[34:35], v[26:27] neg_lo:[0,1] neg_hi:[0,1]
	v_pk_add_f32 v[22:23], v[30:31], v[22:23] neg_lo:[0,1] neg_hi:[0,1]
	v_mov_b32_e32 v41, v9
	v_mov_b32_e32 v43, v15
	v_pk_fma_f32 v[16:17], v[16:17], 2.0, v[28:29] op_sel_hi:[1,0,1] neg_lo:[0,0,1] neg_hi:[0,0,1]
	v_pk_fma_f32 v[32:33], v[32:33], 2.0, v[24:25] op_sel_hi:[1,0,1] neg_lo:[0,0,1] neg_hi:[0,0,1]
	;; [unrolled: 1-line block ×6, first 2 shown]
	v_pk_add_f32 v[32:33], v[16:17], v[32:33] neg_lo:[0,1] neg_hi:[0,1]
	v_pk_add_f32 v[30:31], v[34:35], v[30:31] neg_lo:[0,1] neg_hi:[0,1]
	v_pk_fma_f32 v[36:37], v[10:11], s[2:3], v[6:7] op_sel_hi:[1,0,1] neg_lo:[1,0,0] neg_hi:[1,0,0]
	v_pk_mul_f32 v[10:11], v[10:11], s[6:7] op_sel_hi:[1,0]
	v_pk_fma_f32 v[16:17], v[16:17], 2.0, v[32:33] op_sel_hi:[1,0,1] neg_lo:[0,0,1] neg_hi:[0,0,1]
	v_pk_fma_f32 v[34:35], v[34:35], 2.0, v[30:31] op_sel_hi:[1,0,1] neg_lo:[0,0,1] neg_hi:[0,0,1]
	v_pk_add_f32 v[44:45], v[36:37], v[10:11] op_sel:[0,1] op_sel_hi:[1,0]
	v_pk_add_f32 v[10:11], v[36:37], v[10:11] op_sel:[0,1] op_sel_hi:[1,0] neg_lo:[0,1] neg_hi:[0,1]
	v_pk_add_f32 v[34:35], v[16:17], v[34:35] neg_lo:[0,1] neg_hi:[0,1]
	v_mov_b32_e32 v45, v11
	v_pk_fma_f32 v[16:17], v[16:17], 2.0, v[34:35] op_sel_hi:[1,0,1] neg_lo:[0,0,1] neg_hi:[0,0,1]
	v_pk_fma_f32 v[6:7], v[6:7], 2.0, v[44:45] op_sel_hi:[1,0,1] neg_lo:[0,0,1] neg_hi:[0,0,1]
	v_fmamk_f32 v10, v42, 0x3ec3ef15, v40
	v_fmamk_f32 v8, v15, 0x3ec3ef15, v9
	v_fmac_f32_e32 v10, 0x3f6c835e, v15
	ds_write2_b64 v66, v[16:17], v[6:7] offset1:48
	v_pk_add_f32 v[6:7], v[28:29], v[24:25] op_sel:[0,1] op_sel_hi:[1,0]
	v_pk_add_f32 v[14:15], v[28:29], v[24:25] op_sel:[0,1] op_sel_hi:[1,0] neg_lo:[0,1] neg_hi:[0,1]
	v_pk_add_f32 v[16:17], v[26:27], v[22:23] op_sel:[0,1] op_sel_hi:[1,0]
	v_pk_add_f32 v[22:23], v[26:27], v[22:23] op_sel:[0,1] op_sel_hi:[1,0] neg_lo:[0,1] neg_hi:[0,1]
	v_mov_b32_e32 v7, v15
	v_mov_b32_e32 v17, v23
	v_pk_fma_f32 v[14:15], v[28:29], 2.0, v[6:7] op_sel_hi:[1,0,1] neg_lo:[0,0,1] neg_hi:[0,0,1]
	v_pk_fma_f32 v[22:23], v[26:27], 2.0, v[16:17] op_sel_hi:[1,0,1] neg_lo:[0,0,1] neg_hi:[0,0,1]
	v_pk_mul_f32 v[28:29], v[18:19], s[0:1] op_sel_hi:[1,0]
	v_pk_mul_f32 v[24:25], v[22:23], s[0:1] op_sel_hi:[1,0]
	v_pk_fma_f32 v[22:23], v[22:23], s[0:1], v[14:15] op_sel_hi:[1,0,1] neg_lo:[1,0,0] neg_hi:[1,0,0]
	v_pk_fma_f32 v[18:19], v[18:19], s[0:1], v[20:21] op_sel_hi:[1,0,1]
	v_pk_add_f32 v[26:27], v[22:23], v[24:25] op_sel:[0,1] op_sel_hi:[1,0]
	v_pk_add_f32 v[22:23], v[22:23], v[24:25] op_sel:[0,1] op_sel_hi:[1,0] neg_lo:[0,1] neg_hi:[0,1]
	v_pk_add_f32 v[36:37], v[18:19], v[28:29] op_sel:[0,1] op_sel_hi:[1,0]
	v_mov_b32_e32 v27, v23
	v_pk_mul_f32 v[22:23], v[12:13], s[0:1] op_sel_hi:[1,0]
	v_pk_fma_f32 v[12:13], v[12:13], s[0:1], v[38:39] op_sel_hi:[1,0,1]
	v_pk_add_f32 v[18:19], v[18:19], v[28:29] op_sel:[0,1] op_sel_hi:[1,0] neg_lo:[0,1] neg_hi:[0,1]
	v_pk_add_f32 v[24:25], v[12:13], v[22:23] op_sel:[0,1] op_sel_hi:[1,0]
	v_pk_add_f32 v[12:13], v[12:13], v[22:23] op_sel:[0,1] op_sel_hi:[1,0] neg_lo:[0,1] neg_hi:[0,1]
	v_mov_b32_e32 v37, v19
	v_mov_b32_e32 v25, v13
	v_pk_fma_f32 v[22:23], v[38:39], 2.0, v[24:25] op_sel_hi:[1,0,1] neg_lo:[0,0,1] neg_hi:[0,0,1]
	v_pk_fma_f32 v[20:21], v[20:21], 2.0, v[36:37] op_sel_hi:[1,0,1] neg_lo:[0,0,1] neg_hi:[0,0,1]
	;; [unrolled: 1-line block ×3, first 2 shown]
	v_pk_fma_f32 v[28:29], v[20:21], s[6:7], v[22:23] op_sel_hi:[1,0,1] neg_lo:[1,0,0] neg_hi:[1,0,0]
	v_pk_mul_f32 v[20:21], v[20:21], s[2:3] op_sel_hi:[1,0]
	v_fmamk_f32 v11, v42, 0xbf6c835e, v8
	v_pk_add_f32 v[38:39], v[28:29], v[20:21] op_sel:[0,1] op_sel_hi:[1,0]
	v_pk_add_f32 v[20:21], v[28:29], v[20:21] op_sel:[0,1] op_sel_hi:[1,0] neg_lo:[0,1] neg_hi:[0,1]
	v_fma_f32 v8, v40, 2.0, -v10
	v_mov_b32_e32 v39, v21
	v_pk_fma_f32 v[20:21], v[22:23], 2.0, v[38:39] op_sel_hi:[1,0,1] neg_lo:[0,0,1] neg_hi:[0,0,1]
	ds_write2_b64 v66, v[14:15], v[20:21] offset0:96 offset1:144
	v_pk_add_f32 v[14:15], v[32:33], v[30:31] op_sel:[0,1] op_sel_hi:[1,0]
	v_pk_add_f32 v[20:21], v[32:33], v[30:31] op_sel:[0,1] op_sel_hi:[1,0] neg_lo:[0,1] neg_hi:[0,1]
	v_fma_f32 v9, v9, 2.0, -v11
	v_mov_b32_e32 v15, v21
	v_pk_fma_f32 v[20:21], v[32:33], 2.0, v[14:15] op_sel_hi:[1,0,1] neg_lo:[0,0,1] neg_hi:[0,0,1]
	ds_write2_b64 v66, v[20:21], v[8:9] offset0:192 offset1:240
	v_pk_mul_f32 v[8:9], v[16:17], s[0:1] op_sel_hi:[1,0]
	v_pk_fma_f32 v[16:17], v[16:17], s[0:1], v[6:7] op_sel_hi:[1,0,1]
	v_fmamk_f32 v18, v36, 0x3f6c835e, v24
	v_fmamk_f32 v12, v19, 0x3f6c835e, v13
	v_pk_add_f32 v[20:21], v[16:17], v[8:9] op_sel:[0,1] op_sel_hi:[1,0]
	v_pk_add_f32 v[8:9], v[16:17], v[8:9] op_sel:[0,1] op_sel_hi:[1,0] neg_lo:[0,1] neg_hi:[0,1]
	v_fmac_f32_e32 v18, 0x3ec3ef15, v19
	v_fmamk_f32 v19, v36, 0xbec3ef15, v12
	v_mov_b32_e32 v21, v9
	v_fma_f32 v12, v24, 2.0, -v18
	v_fma_f32 v13, v13, 2.0, -v19
	v_pk_fma_f32 v[6:7], v[6:7], 2.0, v[20:21] op_sel_hi:[1,0,1] neg_lo:[0,0,1] neg_hi:[0,0,1]
	ds_write2_b64 v5, v[6:7], v[12:13] offset0:32 offset1:80
	ds_write2_b64 v5, v[34:35], v[44:45] offset0:128 offset1:176
	;; [unrolled: 1-line block ×5, first 2 shown]
	s_waitcnt lgkmcnt(0)
	; wave barrier
	s_waitcnt lgkmcnt(0)
	ds_read2_b64 v[6:9], v66 offset1:48
	v_mov_b32_e32 v10, v3
	v_mad_u64_u32 v[10:11], s[0:1], s7, v74, v[10:11]
	v_mov_b32_e32 v3, v10
	s_waitcnt lgkmcnt(0)
	v_mul_f32_e32 v10, v103, v7
	v_fmac_f32_e32 v10, v102, v6
	v_mul_f32_e32 v6, v103, v6
	s_mov_b32 s0, 0x55555555
	v_fma_f32 v6, v102, v7, -v6
	v_cvt_f64_f32_e32 v[10:11], v10
	s_mov_b32 s1, 0x3f555555
	v_cvt_f64_f32_e32 v[6:7], v6
	v_mul_f64 v[10:11], v[10:11], s[0:1]
	v_mul_f64 v[6:7], v[6:7], s[0:1]
	v_cvt_f32_f64_e32 v10, v[10:11]
	v_cvt_f32_f64_e32 v11, v[6:7]
	v_mad_u64_u32 v[6:7], s[2:3], s4, v80, 0
	v_mov_b32_e32 v12, v7
	v_mad_u64_u32 v[12:13], s[2:3], s5, v80, v[12:13]
	v_mov_b32_e32 v7, v12
	v_lshl_add_u64 v[0:1], v[2:3], 3, v[0:1]
	v_lshl_add_u64 v[2:3], v[6:7], 3, v[0:1]
	v_mul_f32_e32 v6, v99, v9
	v_fmac_f32_e32 v6, v98, v8
	v_cvt_f64_f32_e32 v[6:7], v6
	v_mul_f64 v[6:7], v[6:7], s[0:1]
	global_store_dwordx2 v[2:3], v[10:11], off
	v_cvt_f32_f64_e32 v10, v[6:7]
	v_mul_f32_e32 v6, v99, v8
	v_fma_f32 v6, v98, v9, -v6
	v_cvt_f64_f32_e32 v[6:7], v6
	v_mul_f64 v[6:7], v[6:7], s[0:1]
	v_cvt_f32_f64_e32 v11, v[6:7]
	ds_read2_b64 v[6:9], v66 offset0:96 offset1:144
	v_mov_b32_e32 v14, 0x180
	v_mad_u64_u32 v[2:3], s[2:3], s4, v14, v[2:3]
	s_mul_i32 s2, s5, 0x180
	s_nop 0
	v_add_u32_e32 v3, s2, v3
	global_store_dwordx2 v[2:3], v[10:11], off
	s_waitcnt lgkmcnt(0)
	v_mul_f32_e32 v10, v91, v7
	v_fmac_f32_e32 v10, v90, v6
	v_mul_f32_e32 v6, v91, v6
	v_fma_f32 v6, v90, v7, -v6
	v_cvt_f64_f32_e32 v[10:11], v10
	v_cvt_f64_f32_e32 v[6:7], v6
	v_mul_f64 v[10:11], v[10:11], s[0:1]
	v_mul_f64 v[6:7], v[6:7], s[0:1]
	v_cvt_f32_f64_e32 v10, v[10:11]
	v_cvt_f32_f64_e32 v11, v[6:7]
	v_mul_f32_e32 v6, v85, v9
	v_fmac_f32_e32 v6, v84, v8
	v_mad_u64_u32 v[2:3], s[6:7], s4, v14, v[2:3]
	v_cvt_f64_f32_e32 v[6:7], v6
	v_add_u32_e32 v3, s2, v3
	v_mul_f64 v[6:7], v[6:7], s[0:1]
	global_store_dwordx2 v[2:3], v[10:11], off
	v_cvt_f32_f64_e32 v10, v[6:7]
	v_mul_f32_e32 v6, v85, v8
	v_fma_f32 v6, v84, v9, -v6
	v_cvt_f64_f32_e32 v[6:7], v6
	v_mul_f64 v[6:7], v[6:7], s[0:1]
	v_cvt_f32_f64_e32 v11, v[6:7]
	ds_read2_b64 v[6:9], v66 offset0:192 offset1:240
	v_mad_u64_u32 v[2:3], s[6:7], s4, v14, v[2:3]
	v_add_u32_e32 v3, s2, v3
	global_store_dwordx2 v[2:3], v[10:11], off
	s_waitcnt lgkmcnt(0)
	v_mul_f32_e32 v10, v101, v7
	v_fmac_f32_e32 v10, v100, v6
	v_mul_f32_e32 v6, v101, v6
	v_fma_f32 v6, v100, v7, -v6
	v_cvt_f64_f32_e32 v[10:11], v10
	v_cvt_f64_f32_e32 v[6:7], v6
	v_mul_f64 v[10:11], v[10:11], s[0:1]
	v_mul_f64 v[6:7], v[6:7], s[0:1]
	v_cvt_f32_f64_e32 v10, v[10:11]
	v_cvt_f32_f64_e32 v11, v[6:7]
	v_mad_u64_u32 v[6:7], s[6:7], s4, v81, 0
	v_mov_b32_e32 v12, v7
	v_mad_u64_u32 v[12:13], s[6:7], s5, v81, v[12:13]
	v_mov_b32_e32 v7, v12
	v_lshl_add_u64 v[6:7], v[6:7], 3, v[0:1]
	global_store_dwordx2 v[6:7], v[10:11], off
	v_mul_f32_e32 v6, v95, v9
	v_fmac_f32_e32 v6, v94, v8
	v_cvt_f64_f32_e32 v[6:7], v6
	v_mul_f64 v[6:7], v[6:7], s[0:1]
	v_cvt_f32_f64_e32 v10, v[6:7]
	v_mul_f32_e32 v6, v95, v8
	v_fma_f32 v6, v94, v9, -v6
	v_cvt_f64_f32_e32 v[6:7], v6
	v_mul_f64 v[6:7], v[6:7], s[0:1]
	v_cvt_f32_f64_e32 v11, v[6:7]
	ds_read2_b64 v[6:9], v5 offset0:32 offset1:80
	v_mov_b32_e32 v15, 0x300
	v_mad_u64_u32 v[2:3], s[6:7], s4, v15, v[2:3]
	s_mul_i32 s3, s5, 0x300
	v_add_u32_e32 v3, s3, v3
	global_store_dwordx2 v[2:3], v[10:11], off
	s_waitcnt lgkmcnt(0)
	v_mul_f32_e32 v10, v87, v7
	v_fmac_f32_e32 v10, v86, v6
	v_mul_f32_e32 v6, v87, v6
	v_fma_f32 v6, v86, v7, -v6
	v_cvt_f64_f32_e32 v[10:11], v10
	v_cvt_f64_f32_e32 v[6:7], v6
	v_mul_f64 v[10:11], v[10:11], s[0:1]
	v_mul_f64 v[6:7], v[6:7], s[0:1]
	v_cvt_f32_f64_e32 v10, v[10:11]
	v_cvt_f32_f64_e32 v11, v[6:7]
	v_mul_f32_e32 v6, v77, v9
	v_fmac_f32_e32 v6, v76, v8
	v_mad_u64_u32 v[2:3], s[6:7], s4, v14, v[2:3]
	v_cvt_f64_f32_e32 v[6:7], v6
	v_add_u32_e32 v3, s2, v3
	v_mul_f64 v[6:7], v[6:7], s[0:1]
	global_store_dwordx2 v[2:3], v[10:11], off
	v_cvt_f32_f64_e32 v10, v[6:7]
	v_mul_f32_e32 v6, v77, v8
	v_fma_f32 v6, v76, v9, -v6
	v_cvt_f64_f32_e32 v[6:7], v6
	v_mul_f64 v[6:7], v[6:7], s[0:1]
	v_cvt_f32_f64_e32 v11, v[6:7]
	ds_read2_b64 v[6:9], v5 offset0:128 offset1:176
	v_mad_u64_u32 v[2:3], s[6:7], s4, v14, v[2:3]
	v_add_u32_e32 v3, s2, v3
	global_store_dwordx2 v[2:3], v[10:11], off
	s_waitcnt lgkmcnt(0)
	v_mul_f32_e32 v5, v97, v7
	v_fmac_f32_e32 v5, v96, v6
	v_cvt_f64_f32_e32 v[10:11], v5
	v_mul_f32_e32 v5, v97, v6
	v_fma_f32 v5, v96, v7, -v5
	v_cvt_f64_f32_e32 v[6:7], v5
	v_mul_f64 v[10:11], v[10:11], s[0:1]
	v_mul_f64 v[6:7], v[6:7], s[0:1]
	v_cvt_f32_f64_e32 v10, v[10:11]
	v_cvt_f32_f64_e32 v11, v[6:7]
	v_mad_u64_u32 v[6:7], s[6:7], s4, v75, 0
	v_mov_b32_e32 v12, v7
	v_mad_u64_u32 v[12:13], s[6:7], s5, v75, v[12:13]
	v_mov_b32_e32 v7, v12
	v_mul_f32_e32 v5, v93, v9
	v_lshl_add_u64 v[6:7], v[6:7], 3, v[0:1]
	v_fmac_f32_e32 v5, v92, v8
	global_store_dwordx2 v[6:7], v[10:11], off
	v_cvt_f64_f32_e32 v[6:7], v5
	v_mul_f32_e32 v5, v93, v8
	v_mul_f64 v[6:7], v[6:7], s[0:1]
	v_fma_f32 v5, v92, v9, -v5
	v_cvt_f32_f64_e32 v10, v[6:7]
	v_cvt_f64_f32_e32 v[6:7], v5
	v_mul_f64 v[6:7], v[6:7], s[0:1]
	v_cvt_f32_f64_e32 v11, v[6:7]
	ds_read2_b64 v[6:9], v108 offset0:96 offset1:144
	v_mad_u64_u32 v[2:3], s[6:7], s4, v15, v[2:3]
	v_add_u32_e32 v3, s3, v3
	global_store_dwordx2 v[2:3], v[10:11], off
	s_waitcnt lgkmcnt(0)
	v_mul_f32_e32 v5, v83, v7
	v_fmac_f32_e32 v5, v82, v6
	v_cvt_f64_f32_e32 v[10:11], v5
	v_mul_f32_e32 v5, v83, v6
	v_fma_f32 v5, v82, v7, -v5
	v_cvt_f64_f32_e32 v[6:7], v5
	v_mul_f32_e32 v5, v89, v9
	v_mul_f64 v[10:11], v[10:11], s[0:1]
	v_mul_f64 v[6:7], v[6:7], s[0:1]
	v_fmac_f32_e32 v5, v88, v8
	v_cvt_f32_f64_e32 v10, v[10:11]
	v_cvt_f32_f64_e32 v11, v[6:7]
	v_mad_u64_u32 v[2:3], s[6:7], s4, v14, v[2:3]
	v_cvt_f64_f32_e32 v[6:7], v5
	v_mul_f32_e32 v5, v89, v8
	v_add_u32_e32 v3, s2, v3
	v_mul_f64 v[6:7], v[6:7], s[0:1]
	v_fma_f32 v5, v88, v9, -v5
	global_store_dwordx2 v[2:3], v[10:11], off
	v_cvt_f32_f64_e32 v10, v[6:7]
	v_cvt_f64_f32_e32 v[6:7], v5
	v_mul_f64 v[6:7], v[6:7], s[0:1]
	v_cvt_f32_f64_e32 v11, v[6:7]
	ds_read2_b64 v[6:9], v4 offset0:64 offset1:112
	v_mad_u64_u32 v[12:13], s[6:7], s4, v14, v[2:3]
	v_add_u32_e32 v13, s2, v13
	global_store_dwordx2 v[12:13], v[10:11], off
	s_waitcnt lgkmcnt(0)
	v_mul_f32_e32 v2, v79, v7
	v_fmac_f32_e32 v2, v78, v6
	v_cvt_f64_f32_e32 v[2:3], v2
	v_mul_f64 v[2:3], v[2:3], s[0:1]
	v_cvt_f32_f64_e32 v2, v[2:3]
	v_mul_f32_e32 v3, v79, v6
	v_fma_f32 v3, v78, v7, -v3
	v_cvt_f64_f32_e32 v[6:7], v3
	v_mul_f64 v[6:7], v[6:7], s[0:1]
	v_cvt_f32_f64_e32 v3, v[6:7]
	v_mad_u64_u32 v[6:7], s[6:7], s4, v67, 0
	v_mov_b32_e32 v10, v7
	v_mad_u64_u32 v[10:11], s[6:7], s5, v67, v[10:11]
	v_mov_b32_e32 v7, v10
	v_lshl_add_u64 v[0:1], v[6:7], 3, v[0:1]
	global_store_dwordx2 v[0:1], v[2:3], off
	v_mul_f32_e32 v0, v73, v9
	v_fmac_f32_e32 v0, v72, v8
	v_cvt_f64_f32_e32 v[0:1], v0
	v_mul_f64 v[0:1], v[0:1], s[0:1]
	v_cvt_f32_f64_e32 v6, v[0:1]
	v_mul_f32_e32 v0, v73, v8
	v_fma_f32 v0, v72, v9, -v0
	v_cvt_f64_f32_e32 v[0:1], v0
	v_mul_f64 v[0:1], v[0:1], s[0:1]
	v_cvt_f32_f64_e32 v7, v[0:1]
	ds_read2_b64 v[0:3], v4 offset0:160 offset1:208
	v_mad_u64_u32 v[4:5], s[6:7], s4, v15, v[12:13]
	v_add_u32_e32 v5, s3, v5
	global_store_dwordx2 v[4:5], v[6:7], off
	s_waitcnt lgkmcnt(0)
	v_mul_f32_e32 v6, v71, v1
	v_fmac_f32_e32 v6, v70, v0
	v_mul_f32_e32 v0, v71, v0
	v_fma_f32 v0, v70, v1, -v0
	v_cvt_f64_f32_e32 v[6:7], v6
	v_cvt_f64_f32_e32 v[0:1], v0
	v_mul_f64 v[6:7], v[6:7], s[0:1]
	v_mul_f64 v[0:1], v[0:1], s[0:1]
	v_cvt_f32_f64_e32 v6, v[6:7]
	v_cvt_f32_f64_e32 v7, v[0:1]
	v_mad_u64_u32 v[0:1], s[6:7], s4, v14, v[4:5]
	v_mul_f32_e32 v4, v69, v3
	v_fmac_f32_e32 v4, v68, v2
	v_mul_f32_e32 v2, v69, v2
	v_fma_f32 v2, v68, v3, -v2
	v_add_u32_e32 v1, s2, v1
	v_cvt_f64_f32_e32 v[4:5], v4
	v_cvt_f64_f32_e32 v[2:3], v2
	global_store_dwordx2 v[0:1], v[6:7], off
	v_mul_f64 v[4:5], v[4:5], s[0:1]
	v_mul_f64 v[2:3], v[2:3], s[0:1]
	v_mad_u64_u32 v[0:1], s[0:1], s4, v14, v[0:1]
	v_cvt_f32_f64_e32 v4, v[4:5]
	v_cvt_f32_f64_e32 v5, v[2:3]
	v_add_u32_e32 v1, s2, v1
	global_store_dwordx2 v[0:1], v[4:5], off
.LBB0_10:
	s_endpgm
	.section	.rodata,"a",@progbits
	.p2align	6, 0x0
	.amdhsa_kernel bluestein_single_fwd_len768_dim1_sp_op_CI_CI
		.amdhsa_group_segment_fixed_size 6144
		.amdhsa_private_segment_fixed_size 0
		.amdhsa_kernarg_size 104
		.amdhsa_user_sgpr_count 2
		.amdhsa_user_sgpr_dispatch_ptr 0
		.amdhsa_user_sgpr_queue_ptr 0
		.amdhsa_user_sgpr_kernarg_segment_ptr 1
		.amdhsa_user_sgpr_dispatch_id 0
		.amdhsa_user_sgpr_kernarg_preload_length 0
		.amdhsa_user_sgpr_kernarg_preload_offset 0
		.amdhsa_user_sgpr_private_segment_size 0
		.amdhsa_uses_dynamic_stack 0
		.amdhsa_enable_private_segment 0
		.amdhsa_system_sgpr_workgroup_id_x 1
		.amdhsa_system_sgpr_workgroup_id_y 0
		.amdhsa_system_sgpr_workgroup_id_z 0
		.amdhsa_system_sgpr_workgroup_info 0
		.amdhsa_system_vgpr_workitem_id 0
		.amdhsa_next_free_vgpr 170
		.amdhsa_next_free_sgpr 18
		.amdhsa_accum_offset 172
		.amdhsa_reserve_vcc 1
		.amdhsa_float_round_mode_32 0
		.amdhsa_float_round_mode_16_64 0
		.amdhsa_float_denorm_mode_32 3
		.amdhsa_float_denorm_mode_16_64 3
		.amdhsa_dx10_clamp 1
		.amdhsa_ieee_mode 1
		.amdhsa_fp16_overflow 0
		.amdhsa_tg_split 0
		.amdhsa_exception_fp_ieee_invalid_op 0
		.amdhsa_exception_fp_denorm_src 0
		.amdhsa_exception_fp_ieee_div_zero 0
		.amdhsa_exception_fp_ieee_overflow 0
		.amdhsa_exception_fp_ieee_underflow 0
		.amdhsa_exception_fp_ieee_inexact 0
		.amdhsa_exception_int_div_zero 0
	.end_amdhsa_kernel
	.text
.Lfunc_end0:
	.size	bluestein_single_fwd_len768_dim1_sp_op_CI_CI, .Lfunc_end0-bluestein_single_fwd_len768_dim1_sp_op_CI_CI
                                        ; -- End function
	.section	.AMDGPU.csdata,"",@progbits
; Kernel info:
; codeLenInByte = 11320
; NumSgprs: 24
; NumVgprs: 170
; NumAgprs: 0
; TotalNumVgprs: 170
; ScratchSize: 0
; MemoryBound: 0
; FloatMode: 240
; IeeeMode: 1
; LDSByteSize: 6144 bytes/workgroup (compile time only)
; SGPRBlocks: 2
; VGPRBlocks: 21
; NumSGPRsForWavesPerEU: 24
; NumVGPRsForWavesPerEU: 170
; AccumOffset: 172
; Occupancy: 2
; WaveLimiterHint : 1
; COMPUTE_PGM_RSRC2:SCRATCH_EN: 0
; COMPUTE_PGM_RSRC2:USER_SGPR: 2
; COMPUTE_PGM_RSRC2:TRAP_HANDLER: 0
; COMPUTE_PGM_RSRC2:TGID_X_EN: 1
; COMPUTE_PGM_RSRC2:TGID_Y_EN: 0
; COMPUTE_PGM_RSRC2:TGID_Z_EN: 0
; COMPUTE_PGM_RSRC2:TIDIG_COMP_CNT: 0
; COMPUTE_PGM_RSRC3_GFX90A:ACCUM_OFFSET: 42
; COMPUTE_PGM_RSRC3_GFX90A:TG_SPLIT: 0
	.text
	.p2alignl 6, 3212836864
	.fill 256, 4, 3212836864
	.type	__hip_cuid_2f46414497afcf14,@object ; @__hip_cuid_2f46414497afcf14
	.section	.bss,"aw",@nobits
	.globl	__hip_cuid_2f46414497afcf14
__hip_cuid_2f46414497afcf14:
	.byte	0                               ; 0x0
	.size	__hip_cuid_2f46414497afcf14, 1

	.ident	"AMD clang version 19.0.0git (https://github.com/RadeonOpenCompute/llvm-project roc-6.4.0 25133 c7fe45cf4b819c5991fe208aaa96edf142730f1d)"
	.section	".note.GNU-stack","",@progbits
	.addrsig
	.addrsig_sym __hip_cuid_2f46414497afcf14
	.amdgpu_metadata
---
amdhsa.kernels:
  - .agpr_count:     0
    .args:
      - .actual_access:  read_only
        .address_space:  global
        .offset:         0
        .size:           8
        .value_kind:     global_buffer
      - .actual_access:  read_only
        .address_space:  global
        .offset:         8
        .size:           8
        .value_kind:     global_buffer
      - .actual_access:  read_only
        .address_space:  global
        .offset:         16
        .size:           8
        .value_kind:     global_buffer
      - .actual_access:  read_only
        .address_space:  global
        .offset:         24
        .size:           8
        .value_kind:     global_buffer
      - .actual_access:  read_only
        .address_space:  global
        .offset:         32
        .size:           8
        .value_kind:     global_buffer
      - .offset:         40
        .size:           8
        .value_kind:     by_value
      - .address_space:  global
        .offset:         48
        .size:           8
        .value_kind:     global_buffer
      - .address_space:  global
        .offset:         56
        .size:           8
        .value_kind:     global_buffer
      - .address_space:  global
        .offset:         64
        .size:           8
        .value_kind:     global_buffer
      - .address_space:  global
        .offset:         72
        .size:           8
        .value_kind:     global_buffer
      - .offset:         80
        .size:           4
        .value_kind:     by_value
      - .address_space:  global
        .offset:         88
        .size:           8
        .value_kind:     global_buffer
      - .address_space:  global
        .offset:         96
        .size:           8
        .value_kind:     global_buffer
    .group_segment_fixed_size: 6144
    .kernarg_segment_align: 8
    .kernarg_segment_size: 104
    .language:       OpenCL C
    .language_version:
      - 2
      - 0
    .max_flat_workgroup_size: 48
    .name:           bluestein_single_fwd_len768_dim1_sp_op_CI_CI
    .private_segment_fixed_size: 0
    .sgpr_count:     24
    .sgpr_spill_count: 0
    .symbol:         bluestein_single_fwd_len768_dim1_sp_op_CI_CI.kd
    .uniform_work_group_size: 1
    .uses_dynamic_stack: false
    .vgpr_count:     170
    .vgpr_spill_count: 0
    .wavefront_size: 64
amdhsa.target:   amdgcn-amd-amdhsa--gfx950
amdhsa.version:
  - 1
  - 2
...

	.end_amdgpu_metadata
